;; amdgpu-corpus repo=ROCm/rocFFT kind=compiled arch=gfx950 opt=O3
	.text
	.amdgcn_target "amdgcn-amd-amdhsa--gfx950"
	.amdhsa_code_object_version 6
	.protected	bluestein_single_fwd_len1530_dim1_sp_op_CI_CI ; -- Begin function bluestein_single_fwd_len1530_dim1_sp_op_CI_CI
	.globl	bluestein_single_fwd_len1530_dim1_sp_op_CI_CI
	.p2align	8
	.type	bluestein_single_fwd_len1530_dim1_sp_op_CI_CI,@function
bluestein_single_fwd_len1530_dim1_sp_op_CI_CI: ; @bluestein_single_fwd_len1530_dim1_sp_op_CI_CI
; %bb.0:
	s_load_dwordx4 s[12:15], s[0:1], 0x28
	v_mul_u32_u24_e32 v1, 0x283, v0
	v_mov_b32_e32 v109, 0
	v_add_u32_sdwa v110, s2, v1 dst_sel:DWORD dst_unused:UNUSED_PAD src0_sel:DWORD src1_sel:WORD_1
	v_mov_b32_e32 v111, v109
	s_waitcnt lgkmcnt(0)
	v_cmp_gt_u64_e32 vcc, s[12:13], v[110:111]
	s_and_saveexec_b64 s[2:3], vcc
	s_cbranch_execz .LBB0_25
; %bb.1:
	s_load_dwordx2 s[12:13], s[0:1], 0x0
	s_load_dwordx2 s[16:17], s[0:1], 0x38
	s_movk_i32 s2, 0x66
	v_mul_lo_u16_sdwa v1, v1, s2 dst_sel:DWORD dst_unused:UNUSED_PAD src0_sel:WORD_1 src1_sel:DWORD
	v_sub_u16_e32 v108, v0, v1
	s_movk_i32 s2, 0x5a
	v_cmp_gt_u16_e64 s[6:7], s2, v108
	v_lshlrev_b32_e32 v106, 3, v108
	s_and_saveexec_b64 s[2:3], s[6:7]
	s_cbranch_execz .LBB0_3
; %bb.2:
	s_load_dwordx2 s[4:5], s[0:1], 0x18
	v_mov_b32_e32 v0, s14
	v_mov_b32_e32 v1, s15
	;; [unrolled: 1-line block ×4, first 2 shown]
	s_waitcnt lgkmcnt(0)
	s_load_dwordx4 s[8:11], s[4:5], 0x0
	v_lshl_add_u64 v[16:17], s[12:13], 0, v[106:107]
	s_waitcnt lgkmcnt(0)
	v_mad_u64_u32 v[2:3], s[4:5], s10, v110, 0
	v_mad_u64_u32 v[4:5], s[4:5], s8, v108, 0
	v_mov_b32_e32 v6, v3
	v_mov_b32_e32 v8, v5
	v_mad_u64_u32 v[6:7], s[4:5], s11, v110, v[6:7]
	v_mov_b32_e32 v3, v6
	v_mad_u64_u32 v[6:7], s[4:5], s9, v108, v[8:9]
	v_mov_b32_e32 v5, v6
	v_lshl_add_u64 v[0:1], v[2:3], 3, v[0:1]
	v_lshl_add_u64 v[4:5], v[4:5], 3, v[0:1]
	v_mad_u64_u32 v[14:15], s[4:5], s8, v70, v[4:5]
	s_mul_i32 s4, s9, 0x2d0
	s_nop 0
	v_add_u32_e32 v15, s4, v15
	global_load_dwordx2 v[0:1], v[4:5], off
	global_load_dwordx2 v[2:3], v106, s[12:13]
	s_nop 0
	global_load_dwordx2 v[4:5], v106, s[12:13] offset:720
	global_load_dwordx2 v[6:7], v106, s[12:13] offset:1440
	;; [unrolled: 1-line block ×5, first 2 shown]
	global_load_dwordx2 v[20:21], v[14:15], off
	v_mad_u64_u32 v[14:15], s[10:11], s8, v70, v[14:15]
	v_add_u32_e32 v15, s4, v15
	v_mad_u64_u32 v[22:23], s[10:11], s8, v70, v[14:15]
	v_add_u32_e32 v23, s4, v23
	global_load_dwordx2 v[14:15], v[14:15], off
	s_movk_i32 s5, 0x1000
	global_load_dwordx2 v[24:25], v[22:23], off
	v_mad_u64_u32 v[22:23], s[10:11], s8, v70, v[22:23]
	v_add_u32_e32 v23, s4, v23
	global_load_dwordx2 v[26:27], v[22:23], off
	v_mad_u64_u32 v[22:23], s[10:11], s8, v70, v[22:23]
	v_add_u32_e32 v23, s4, v23
	global_load_dwordx2 v[28:29], v[22:23], off
	v_mad_u64_u32 v[22:23], s[10:11], s8, v70, v[22:23]
	v_add_co_u32_e32 v18, vcc, s5, v16
	v_add_u32_e32 v23, s4, v23
	s_nop 0
	v_addc_co_u32_e32 v19, vcc, 0, v17, vcc
	global_load_dwordx2 v[30:31], v[22:23], off
	global_load_dwordx2 v[32:33], v[18:19], off offset:224
	v_mad_u64_u32 v[22:23], s[10:11], s8, v70, v[22:23]
	v_add_u32_e32 v23, s4, v23
	global_load_dwordx2 v[34:35], v[22:23], off
	global_load_dwordx2 v[36:37], v[18:19], off offset:944
	global_load_dwordx2 v[38:39], v[18:19], off offset:1664
	;; [unrolled: 1-line block ×3, first 2 shown]
	v_mad_u64_u32 v[22:23], s[10:11], s8, v70, v[22:23]
	v_add_u32_e32 v23, s4, v23
	global_load_dwordx2 v[42:43], v[22:23], off
	v_mad_u64_u32 v[22:23], s[10:11], s8, v70, v[22:23]
	v_add_u32_e32 v23, s4, v23
	global_load_dwordx2 v[44:45], v[22:23], off
	;; [unrolled: 3-line block ×3, first 2 shown]
	global_load_dwordx2 v[48:49], v[18:19], off offset:3104
	v_mad_u64_u32 v[22:23], s[10:11], s8, v70, v[22:23]
	v_add_u32_e32 v23, s4, v23
	s_movk_i32 s9, 0x2000
	global_load_dwordx2 v[50:51], v[22:23], off
	global_load_dwordx2 v[52:53], v[18:19], off offset:3824
	v_mad_u64_u32 v[18:19], s[10:11], s8, v70, v[22:23]
	v_add_co_u32_e32 v16, vcc, s9, v16
	v_add_u32_e32 v19, s4, v19
	s_nop 0
	v_addc_co_u32_e32 v17, vcc, 0, v17, vcc
	global_load_dwordx2 v[22:23], v[18:19], off
	global_load_dwordx2 v[54:55], v[16:17], off offset:448
	v_mad_u64_u32 v[18:19], s[10:11], s8, v70, v[18:19]
	v_add_u32_e32 v19, s4, v19
	global_load_dwordx2 v[56:57], v[18:19], off
	global_load_dwordx2 v[58:59], v[16:17], off offset:1168
	global_load_dwordx2 v[60:61], v[16:17], off offset:1888
	;; [unrolled: 1-line block ×3, first 2 shown]
	v_mad_u64_u32 v[18:19], s[10:11], s8, v70, v[18:19]
	v_add_u32_e32 v19, s4, v19
	global_load_dwordx2 v[64:65], v[18:19], off
	v_mad_u64_u32 v[18:19], s[10:11], s8, v70, v[18:19]
	v_add_u32_e32 v19, s4, v19
	global_load_dwordx2 v[66:67], v[18:19], off
	global_load_dwordx2 v[68:69], v[16:17], off offset:3328
	v_mad_u64_u32 v[16:17], s[8:9], s8, v70, v[18:19]
	v_add_u32_e32 v17, s4, v17
	global_load_dwordx2 v[16:17], v[16:17], off
	s_waitcnt vmcnt(32)
	v_mul_f32_e32 v18, v1, v3
	v_mul_f32_e32 v3, v0, v3
	v_fmac_f32_e32 v18, v0, v2
	v_fma_f32 v19, v1, v2, -v3
	s_waitcnt vmcnt(26)
	v_mul_f32_e32 v0, v21, v5
	v_mul_f32_e32 v1, v20, v5
	v_fmac_f32_e32 v0, v20, v4
	v_fma_f32 v1, v21, v4, -v1
	ds_write2_b64 v106, v[18:19], v[0:1] offset1:90
	s_waitcnt vmcnt(25)
	v_mul_f32_e32 v0, v14, v7
	v_fma_f32 v1, v15, v6, -v0
	v_mul_f32_e32 v0, v15, v7
	s_waitcnt vmcnt(24)
	v_mul_f32_e32 v2, v25, v9
	v_mul_f32_e32 v3, v24, v9
	v_fmac_f32_e32 v0, v14, v6
	v_fmac_f32_e32 v2, v24, v8
	v_fma_f32 v3, v25, v8, -v3
	v_add_u32_e32 v4, 0x400, v106
	ds_write2_b64 v4, v[0:1], v[2:3] offset0:52 offset1:142
	s_waitcnt vmcnt(23)
	v_mul_f32_e32 v0, v27, v11
	v_mul_f32_e32 v1, v26, v11
	s_waitcnt vmcnt(22)
	v_mul_f32_e32 v2, v29, v13
	v_mul_f32_e32 v3, v28, v13
	v_fmac_f32_e32 v0, v26, v10
	v_fma_f32 v1, v27, v10, -v1
	v_fmac_f32_e32 v2, v28, v12
	v_fma_f32 v3, v29, v12, -v3
	v_add_u32_e32 v4, 0x800, v106
	ds_write2_b64 v4, v[0:1], v[2:3] offset0:104 offset1:194
	s_waitcnt vmcnt(20)
	v_mul_f32_e32 v0, v31, v33
	v_mul_f32_e32 v1, v30, v33
	s_waitcnt vmcnt(18)
	v_mul_f32_e32 v2, v35, v37
	v_mul_f32_e32 v3, v34, v37
	v_fmac_f32_e32 v0, v30, v32
	v_fma_f32 v1, v31, v32, -v1
	;; [unrolled: 12-line block ×6, first 2 shown]
	v_fmac_f32_e32 v2, v66, v62
	v_fma_f32 v3, v67, v62, -v3
	v_add_u32_e32 v4, 0x2400, v106
	ds_write2_b64 v4, v[0:1], v[2:3] offset0:108 offset1:198
	s_waitcnt vmcnt(0)
	v_mul_f32_e32 v0, v17, v69
	v_mul_f32_e32 v1, v16, v69
	v_fmac_f32_e32 v0, v16, v68
	v_fma_f32 v1, v17, v68, -v1
	ds_write_b64 v106, v[0:1] offset:11520
.LBB0_3:
	s_or_b64 exec, exec, s[2:3]
	s_load_dwordx2 s[2:3], s[0:1], 0x20
	s_load_dwordx2 s[14:15], s[0:1], 0x8
	v_mov_b64_e32 v[0:1], 0
	s_waitcnt lgkmcnt(0)
	s_barrier
	s_waitcnt lgkmcnt(0)
                                        ; implicit-def: $vgpr6
                                        ; implicit-def: $vgpr12
                                        ; implicit-def: $vgpr10
                                        ; implicit-def: $vgpr20
                                        ; implicit-def: $vgpr18
                                        ; implicit-def: $vgpr28
                                        ; implicit-def: $vgpr26
                                        ; implicit-def: $vgpr60
	s_and_saveexec_b64 s[0:1], s[6:7]
	s_cbranch_execz .LBB0_5
; %bb.4:
	v_add_u32_e32 v4, 0x400, v106
	ds_read2_b64 v[24:27], v4 offset0:52 offset1:142
	v_add_u32_e32 v4, 0x800, v106
	ds_read2_b64 v[16:19], v4 offset0:104 offset1:194
	;; [unrolled: 2-line block ×3, first 2 shown]
	v_add_u32_e32 v4, 0x1400, v106
	v_add_u32_e32 v12, 0x1800, v106
	;; [unrolled: 1-line block ×4, first 2 shown]
	ds_read2_b64 v[0:3], v106 offset1:90
	ds_read2_b64 v[4:7], v4 offset0:80 offset1:170
	ds_read2_b64 v[12:15], v12 offset0:132 offset1:222
	;; [unrolled: 1-line block ×4, first 2 shown]
	ds_read_b64 v[60:61], v106 offset:11520
.LBB0_5:
	s_or_b64 exec, exec, s[0:1]
	s_waitcnt lgkmcnt(0)
	v_pk_add_f32 v[50:51], v[2:3], v[60:61] neg_lo:[0,1] neg_hi:[0,1]
	s_mov_b32 s34, 0xbf2c7751
	v_pk_add_f32 v[48:49], v[60:61], v[2:3]
	v_pk_add_f32 v[46:47], v[24:25], v[30:31] neg_lo:[0,1] neg_hi:[0,1]
	s_mov_b32 s8, 0x3f3d2fb0
	v_pk_mul_f32 v[32:33], v[50:51], s[34:35] op_sel_hi:[1,0]
	s_mov_b32 s28, 0xbf7ee86f
	v_pk_add_f32 v[44:45], v[30:31], v[24:25]
	v_pk_fma_f32 v[70:71], v[48:49], s[8:9], v[32:33] op_sel:[0,0,1] op_sel_hi:[1,0,0]
	v_pk_fma_f32 v[72:73], v[48:49], s[8:9], v[32:33] op_sel:[0,0,1] op_sel_hi:[1,0,0] neg_lo:[0,0,1] neg_hi:[0,0,1]
	s_mov_b32 s4, 0x3dbcf732
	v_pk_mul_f32 v[42:43], v[46:47], s[28:29] op_sel_hi:[1,0]
	v_mov_b32_e32 v32, v70
	v_mov_b32_e32 v33, v73
	v_pk_fma_f32 v[74:75], v[44:45], s[4:5], v[42:43] op_sel:[0,0,1] op_sel_hi:[1,0,0]
	v_pk_fma_f32 v[76:77], v[44:45], s[4:5], v[42:43] op_sel:[0,0,1] op_sel_hi:[1,0,0] neg_lo:[0,0,1] neg_hi:[0,0,1]
	v_pk_add_f32 v[40:41], v[26:27], v[28:29] neg_lo:[0,1] neg_hi:[0,1]
	v_pk_add_f32 v[32:33], v[32:33], v[0:1]
	v_mov_b32_e32 v42, v74
	v_mov_b32_e32 v43, v77
	s_mov_b32 s18, 0xbf4c4adb
	v_pk_add_f32 v[38:39], v[28:29], v[26:27]
	v_pk_add_f32 v[32:33], v[42:43], v[32:33]
	s_mov_b32 s10, 0xbf1a4643
	v_pk_mul_f32 v[42:43], v[40:41], s[18:19] op_sel_hi:[1,0]
	v_pk_add_f32 v[36:37], v[16:17], v[22:23] neg_lo:[0,1] neg_hi:[0,1]
	v_pk_fma_f32 v[78:79], v[38:39], s[10:11], v[42:43] op_sel:[0,0,1] op_sel_hi:[1,0,0]
	v_pk_fma_f32 v[80:81], v[38:39], s[10:11], v[42:43] op_sel:[0,0,1] op_sel_hi:[1,0,0] neg_lo:[0,0,1] neg_hi:[0,0,1]
	v_mov_b32_e32 v42, v78
	v_mov_b32_e32 v43, v81
	s_mov_b32 s26, 0xbe3c28d5
	v_pk_add_f32 v[34:35], v[22:23], v[16:17]
	v_pk_add_f32 v[32:33], v[42:43], v[32:33]
	s_mov_b32 s24, 0xbf7ba420
	v_pk_mul_f32 v[42:43], v[36:37], s[26:27] op_sel_hi:[1,0]
	s_mov_b32 s50, 0x3f06c442
	v_pk_fma_f32 v[82:83], v[34:35], s[24:25], v[42:43] op_sel:[0,0,1] op_sel_hi:[1,0,0]
	v_pk_fma_f32 v[84:85], v[34:35], s[24:25], v[42:43] op_sel:[0,0,1] op_sel_hi:[1,0,0] neg_lo:[0,0,1] neg_hi:[0,0,1]
	v_mov_b32_e32 v42, v82
	v_mov_b32_e32 v43, v85
	v_pk_add_f32 v[54:55], v[18:19], v[20:21] neg_lo:[0,1] neg_hi:[0,1]
	v_pk_add_f32 v[32:33], v[42:43], v[32:33]
	s_mov_b32 s22, 0xbf59a7d5
	v_pk_add_f32 v[52:53], v[20:21], v[18:19]
	v_pk_mul_f32 v[42:43], v[54:55], s[50:51] op_sel_hi:[1,0]
	s_mov_b32 s46, 0x3f763a35
	v_pk_fma_f32 v[86:87], v[52:53], s[22:23], v[42:43] op_sel:[0,0,1] op_sel_hi:[1,0,0]
	v_pk_fma_f32 v[88:89], v[52:53], s[22:23], v[42:43] op_sel:[0,0,1] op_sel_hi:[1,0,0] neg_lo:[0,0,1] neg_hi:[0,0,1]
	v_mov_b32_e32 v42, v86
	v_mov_b32_e32 v43, v89
	v_pk_add_f32 v[58:59], v[8:9], v[14:15] neg_lo:[0,1] neg_hi:[0,1]
	v_pk_add_f32 v[32:33], v[42:43], v[32:33]
	s_mov_b32 s20, 0xbe8c1d8e
	v_pk_add_f32 v[56:57], v[14:15], v[8:9]
	v_pk_mul_f32 v[42:43], v[58:59], s[46:47] op_sel_hi:[1,0]
	s_mov_b32 s40, 0xbeb8f4ab
	v_pk_fma_f32 v[90:91], v[56:57], s[20:21], v[42:43] op_sel:[0,0,1] op_sel_hi:[1,0,0]
	v_pk_fma_f32 v[92:93], v[56:57], s[20:21], v[42:43] op_sel:[0,0,1] op_sel_hi:[1,0,0] neg_lo:[0,0,1] neg_hi:[0,0,1]
	v_mov_b32_e32 v42, v90
	v_mov_b32_e32 v43, v93
	v_pk_add_f32 v[32:33], v[42:43], v[32:33]
	s_mov_b32 s30, 0x3f6eb680
	v_pk_mul_f32 v[42:43], v[50:51], s[40:41] op_sel_hi:[1,0]
	v_pk_mul_f32 v[62:63], v[46:47], s[34:35] op_sel_hi:[1,0]
	v_pk_fma_f32 v[94:95], v[48:49], s[30:31], v[42:43] op_sel:[0,0,1] op_sel_hi:[1,0,0]
	v_pk_fma_f32 v[96:97], v[48:49], s[30:31], v[42:43] op_sel:[0,0,1] op_sel_hi:[1,0,0] neg_lo:[0,0,1] neg_hi:[0,0,1]
	v_mov_b32_e32 v42, v94
	v_mov_b32_e32 v43, v97
	v_pk_fma_f32 v[98:99], v[44:45], s[8:9], v[62:63] op_sel:[0,0,1] op_sel_hi:[1,0,0]
	v_pk_fma_f32 v[100:101], v[44:45], s[8:9], v[62:63] op_sel:[0,0,1] op_sel_hi:[1,0,0] neg_lo:[0,0,1] neg_hi:[0,0,1]
	v_mov_b32_e32 v62, v98
	v_mov_b32_e32 v63, v101
	v_pk_add_f32 v[42:43], v[42:43], v[0:1]
	s_mov_b32 s52, 0xbf65296c
	v_pk_add_f32 v[42:43], v[62:63], v[42:43]
	s_mov_b32 s36, 0x3ee437d1
	v_pk_mul_f32 v[62:63], v[40:41], s[52:53] op_sel_hi:[1,0]
	s_mov_b32 s38, 0xbf763a35
	v_pk_fma_f32 v[112:113], v[38:39], s[36:37], v[62:63] op_sel:[0,0,1] op_sel_hi:[1,0,0]
	v_pk_fma_f32 v[114:115], v[38:39], s[36:37], v[62:63] op_sel:[0,0,1] op_sel_hi:[1,0,0] neg_lo:[0,0,1] neg_hi:[0,0,1]
	v_mov_b32_e32 v62, v112
	v_mov_b32_e32 v63, v115
	v_pk_add_f32 v[42:43], v[62:63], v[42:43]
	v_pk_mul_f32 v[62:63], v[36:37], s[28:29] op_sel_hi:[1,0]
	s_mov_b32 s44, 0xbf06c442
	v_pk_fma_f32 v[116:117], v[34:35], s[4:5], v[62:63] op_sel:[0,0,1] op_sel_hi:[1,0,0]
	v_pk_fma_f32 v[118:119], v[34:35], s[4:5], v[62:63] op_sel:[0,0,1] op_sel_hi:[1,0,0] neg_lo:[0,0,1] neg_hi:[0,0,1]
	v_mov_b32_e32 v62, v116
	v_mov_b32_e32 v63, v119
	v_pk_add_f32 v[42:43], v[62:63], v[42:43]
	v_pk_mul_f32 v[62:63], v[54:55], s[38:39] op_sel_hi:[1,0]
	v_pk_add_f32 v[64:65], v[10:11], v[12:13] neg_lo:[0,1] neg_hi:[0,1]
	v_pk_fma_f32 v[124:125], v[52:53], s[20:21], v[62:63] op_sel:[0,0,1] op_sel_hi:[1,0,0]
	v_pk_fma_f32 v[126:127], v[52:53], s[20:21], v[62:63] op_sel:[0,0,1] op_sel_hi:[1,0,0] neg_lo:[0,0,1] neg_hi:[0,0,1]
	v_mov_b32_e32 v62, v124
	v_mov_b32_e32 v63, v127
	v_pk_add_f32 v[42:43], v[62:63], v[42:43]
	v_pk_mul_f32 v[62:63], v[58:59], s[18:19] op_sel_hi:[1,0]
	v_pk_mul_f32 v[66:67], v[64:65], s[44:45] op_sel_hi:[1,0]
	v_pk_fma_f32 v[128:129], v[56:57], s[10:11], v[62:63] op_sel:[0,0,1] op_sel_hi:[1,0,0]
	v_pk_fma_f32 v[130:131], v[56:57], s[10:11], v[62:63] op_sel:[0,0,1] op_sel_hi:[1,0,0] neg_lo:[0,0,1] neg_hi:[0,0,1]
	v_mov_b32_e32 v62, v128
	v_mov_b32_e32 v63, v131
	v_pk_add_f32 v[42:43], v[62:63], v[42:43]
	v_pk_add_f32 v[62:63], v[12:13], v[10:11]
	s_mov_b32 s42, 0x3f65296c
	v_pk_fma_f32 v[132:133], v[62:63], s[22:23], v[66:67] op_sel:[0,0,1] op_sel_hi:[1,0,0]
	v_pk_fma_f32 v[134:135], v[62:63], s[22:23], v[66:67] op_sel:[0,0,1] op_sel_hi:[1,0,0] neg_lo:[0,0,1] neg_hi:[0,0,1]
	v_mov_b32_e32 v66, v132
	v_mov_b32_e32 v67, v135
	v_pk_add_f32 v[42:43], v[66:67], v[42:43]
	v_pk_mul_f32 v[66:67], v[64:65], s[42:43] op_sel_hi:[1,0]
	v_pk_add_f32 v[68:69], v[4:5], v[6:7] neg_lo:[0,1] neg_hi:[0,1]
	v_pk_fma_f32 v[102:103], v[62:63], s[36:37], v[66:67] op_sel:[0,0,1] op_sel_hi:[1,0,0]
	v_pk_fma_f32 v[104:105], v[62:63], s[36:37], v[66:67] op_sel:[0,0,1] op_sel_hi:[1,0,0] neg_lo:[0,0,1] neg_hi:[0,0,1]
	v_mov_b32_e32 v66, v102
	v_mov_b32_e32 v67, v105
	v_pk_add_f32 v[140:141], v[66:67], v[32:33]
	v_pk_add_f32 v[66:67], v[6:7], v[4:5]
	v_pk_mul_f32 v[32:33], v[68:69], s[26:27] op_sel_hi:[1,0]
	s_mov_b32 s48, 0x3eb8f4ab
	v_pk_fma_f32 v[136:137], v[66:67], s[24:25], v[32:33] op_sel:[0,0,1] op_sel_hi:[1,0,0]
	v_pk_fma_f32 v[138:139], v[66:67], s[24:25], v[32:33] op_sel:[0,0,1] op_sel_hi:[1,0,0] neg_lo:[0,0,1] neg_hi:[0,0,1]
	v_mov_b32_e32 v32, v136
	v_mov_b32_e32 v33, v139
	v_pk_add_f32 v[32:33], v[32:33], v[42:43]
	v_pk_mul_f32 v[42:43], v[68:69], s[48:49] op_sel_hi:[1,0]
	v_mul_lo_u16_e32 v171, 17, v108
	v_pk_fma_f32 v[120:121], v[66:67], s[30:31], v[42:43] op_sel:[0,0,1] op_sel_hi:[1,0,0]
	v_pk_fma_f32 v[122:123], v[66:67], s[30:31], v[42:43] op_sel:[0,0,1] op_sel_hi:[1,0,0] neg_lo:[0,0,1] neg_hi:[0,0,1]
	v_mov_b32_e32 v42, v120
	v_mov_b32_e32 v43, v123
	v_pk_add_f32 v[42:43], v[42:43], v[140:141]
	s_barrier
	s_and_saveexec_b64 s[0:1], s[6:7]
	s_cbranch_execz .LBB0_7
; %bb.6:
	v_pk_add_f32 v[2:3], v[2:3], v[0:1]
	v_mov_b32_e32 v97, v95
	v_pk_add_f32 v[2:3], v[24:25], v[2:3]
	v_mov_b32_e32 v101, v99
	;; [unrolled: 2-line block ×7, first 2 shown]
	v_pk_add_f32 v[2:3], v[4:5], v[2:3]
	v_pk_add_f32 v[4:5], v[96:97], v[0:1]
	v_pk_add_f32 v[2:3], v[6:7], v[2:3]
	v_pk_add_f32 v[4:5], v[100:101], v[4:5]
	v_pk_add_f32 v[2:3], v[12:13], v[2:3]
	v_pk_add_f32 v[4:5], v[114:115], v[4:5]
	v_pk_add_f32 v[2:3], v[14:15], v[2:3]
	v_pk_add_f32 v[4:5], v[118:119], v[4:5]
	v_pk_add_f32 v[2:3], v[20:21], v[2:3]
	v_pk_add_f32 v[4:5], v[126:127], v[4:5]
	v_pk_add_f32 v[2:3], v[22:23], v[2:3]
	v_pk_add_f32 v[4:5], v[130:131], v[4:5]
	v_pk_add_f32 v[2:3], v[28:29], v[2:3]
	v_pk_add_f32 v[4:5], v[134:135], v[4:5]
	v_pk_add_f32 v[2:3], v[30:31], v[2:3]
	v_mov_b32_e32 v139, v137
	v_lshlrev_b32_e32 v107, 3, v171
	v_pk_add_f32 v[2:3], v[60:61], v[2:3]
	v_pk_add_f32 v[4:5], v[138:139], v[4:5]
	v_mov_b32_e32 v73, v71
	ds_write2_b64 v107, v[2:3], v[4:5] offset1:1
	v_pk_add_f32 v[2:3], v[72:73], v[0:1]
	v_mov_b32_e32 v77, v75
	v_pk_add_f32 v[2:3], v[76:77], v[2:3]
	v_mov_b32_e32 v81, v79
	;; [unrolled: 2-line block ×7, first 2 shown]
	v_pk_mul_f32 v[4:5], v[50:51], s[52:53] op_sel_hi:[1,0]
	v_pk_add_f32 v[70:71], v[122:123], v[2:3]
	v_pk_fma_f32 v[2:3], v[48:49], s[36:37], v[4:5] op_sel:[0,0,1] op_sel_hi:[1,0,0] neg_lo:[0,0,1] neg_hi:[0,0,1]
	v_pk_fma_f32 v[4:5], v[48:49], s[36:37], v[4:5] op_sel:[0,0,1] op_sel_hi:[1,0,0]
	v_mov_b32_e32 v6, v2
	v_mov_b32_e32 v7, v5
	v_pk_mul_f32 v[8:9], v[46:47], s[18:19] op_sel_hi:[1,0]
	v_pk_add_f32 v[10:11], v[6:7], v[0:1]
	v_pk_fma_f32 v[6:7], v[44:45], s[10:11], v[8:9] op_sel:[0,0,1] op_sel_hi:[1,0,0] neg_lo:[0,0,1] neg_hi:[0,0,1]
	v_pk_fma_f32 v[8:9], v[44:45], s[10:11], v[8:9] op_sel:[0,0,1] op_sel_hi:[1,0,0]
	v_mov_b32_e32 v12, v6
	v_mov_b32_e32 v13, v9
	s_mov_b32 s54, 0x3e3c28d5
	v_pk_add_f32 v[14:15], v[12:13], v[10:11]
	v_pk_mul_f32 v[12:13], v[40:41], s[54:55] op_sel_hi:[1,0]
	s_mov_b32 s54, 0x3f2c7751
	v_pk_fma_f32 v[10:11], v[38:39], s[24:25], v[12:13] op_sel:[0,0,1] op_sel_hi:[1,0,0] neg_lo:[0,0,1] neg_hi:[0,0,1]
	v_pk_fma_f32 v[12:13], v[38:39], s[24:25], v[12:13] op_sel:[0,0,1] op_sel_hi:[1,0,0]
	v_mov_b32_e32 v16, v10
	v_mov_b32_e32 v17, v13
	v_pk_add_f32 v[18:19], v[16:17], v[14:15]
	v_pk_mul_f32 v[16:17], v[36:37], s[46:47] op_sel_hi:[1,0]
	v_pk_mul_f32 v[76:77], v[46:47], s[26:27] op_sel_hi:[1,0]
	v_pk_fma_f32 v[14:15], v[34:35], s[20:21], v[16:17] op_sel:[0,0,1] op_sel_hi:[1,0,0] neg_lo:[0,0,1] neg_hi:[0,0,1]
	v_pk_fma_f32 v[16:17], v[34:35], s[20:21], v[16:17] op_sel:[0,0,1] op_sel_hi:[1,0,0]
	v_mov_b32_e32 v20, v14
	v_mov_b32_e32 v21, v17
	v_pk_add_f32 v[22:23], v[20:21], v[18:19]
	v_pk_mul_f32 v[20:21], v[54:55], s[54:55] op_sel_hi:[1,0]
	s_mov_b32 s56, 0x3f4c4adb
	v_pk_fma_f32 v[18:19], v[52:53], s[8:9], v[20:21] op_sel:[0,0,1] op_sel_hi:[1,0,0] neg_lo:[0,0,1] neg_hi:[0,0,1]
	v_pk_fma_f32 v[20:21], v[52:53], s[8:9], v[20:21] op_sel:[0,0,1] op_sel_hi:[1,0,0]
	v_mov_b32_e32 v24, v18
	v_mov_b32_e32 v25, v21
	v_pk_add_f32 v[26:27], v[24:25], v[22:23]
	v_pk_mul_f32 v[24:25], v[58:59], s[40:41] op_sel_hi:[1,0]
	v_pk_mul_f32 v[114:115], v[46:47], s[50:51] op_sel_hi:[1,0]
	v_pk_fma_f32 v[22:23], v[56:57], s[30:31], v[24:25] op_sel:[0,0,1] op_sel_hi:[1,0,0] neg_lo:[0,0,1] neg_hi:[0,0,1]
	v_pk_fma_f32 v[24:25], v[56:57], s[30:31], v[24:25] op_sel:[0,0,1] op_sel_hi:[1,0,0]
	v_mov_b32_e32 v28, v22
	v_mov_b32_e32 v29, v25
	;; [unrolled: 14-line block ×3, first 2 shown]
	v_pk_add_f32 v[72:73], v[74:75], v[72:73]
	ds_write2_b64 v107, v[70:71], v[72:73] offset0:2 offset1:3
	v_pk_mul_f32 v[72:73], v[50:51], s[28:29] op_sel_hi:[1,0]
	v_pk_fma_f32 v[148:149], v[44:45], s[20:21], v[146:147] op_sel:[0,0,1] op_sel_hi:[1,0,0] neg_lo:[0,0,1] neg_hi:[0,0,1]
	v_pk_fma_f32 v[70:71], v[48:49], s[4:5], v[72:73] op_sel:[0,0,1] op_sel_hi:[1,0,0] neg_lo:[0,0,1] neg_hi:[0,0,1]
	v_pk_fma_f32 v[72:73], v[48:49], s[4:5], v[72:73] op_sel:[0,0,1] op_sel_hi:[1,0,0]
	v_mov_b32_e32 v74, v70
	v_mov_b32_e32 v75, v73
	v_pk_add_f32 v[78:79], v[74:75], v[0:1]
	v_pk_fma_f32 v[74:75], v[44:45], s[24:25], v[76:77] op_sel:[0,0,1] op_sel_hi:[1,0,0] neg_lo:[0,0,1] neg_hi:[0,0,1]
	v_pk_fma_f32 v[76:77], v[44:45], s[24:25], v[76:77] op_sel:[0,0,1] op_sel_hi:[1,0,0]
	v_mov_b32_e32 v80, v74
	v_mov_b32_e32 v81, v77
	v_pk_add_f32 v[82:83], v[80:81], v[78:79]
	v_pk_mul_f32 v[80:81], v[40:41], s[46:47] op_sel_hi:[1,0]
	v_pk_fma_f32 v[146:147], v[44:45], s[20:21], v[146:147] op_sel:[0,0,1] op_sel_hi:[1,0,0]
	v_pk_fma_f32 v[78:79], v[38:39], s[20:21], v[80:81] op_sel:[0,0,1] op_sel_hi:[1,0,0] neg_lo:[0,0,1] neg_hi:[0,0,1]
	v_pk_fma_f32 v[80:81], v[38:39], s[20:21], v[80:81] op_sel:[0,0,1] op_sel_hi:[1,0,0]
	v_mov_b32_e32 v84, v78
	v_mov_b32_e32 v85, v81
	v_pk_add_f32 v[86:87], v[84:85], v[82:83]
	v_pk_mul_f32 v[84:85], v[36:37], s[48:49] op_sel_hi:[1,0]
	v_mov_b32_e32 v150, v148
	v_pk_fma_f32 v[82:83], v[34:35], s[30:31], v[84:85] op_sel:[0,0,1] op_sel_hi:[1,0,0] neg_lo:[0,0,1] neg_hi:[0,0,1]
	v_pk_fma_f32 v[84:85], v[34:35], s[30:31], v[84:85] op_sel:[0,0,1] op_sel_hi:[1,0,0]
	v_mov_b32_e32 v88, v82
	v_mov_b32_e32 v89, v85
	v_pk_add_f32 v[90:91], v[88:89], v[86:87]
	v_pk_mul_f32 v[88:89], v[54:55], s[52:53] op_sel_hi:[1,0]
	v_mov_b32_e32 v151, v147
	;; [unrolled: 7-line block ×3, first 2 shown]
	v_pk_fma_f32 v[90:91], v[56:57], s[22:23], v[92:93] op_sel:[0,0,1] op_sel_hi:[1,0,0] neg_lo:[0,0,1] neg_hi:[0,0,1]
	v_pk_fma_f32 v[92:93], v[56:57], s[22:23], v[92:93] op_sel:[0,0,1] op_sel_hi:[1,0,0]
	v_mov_b32_e32 v96, v90
	v_mov_b32_e32 v97, v93
	v_pk_add_f32 v[98:99], v[96:97], v[94:95]
	v_pk_mul_f32 v[96:97], v[64:65], s[56:57] op_sel_hi:[1,0]
	v_pk_mul_f32 v[180:181], v[46:47], s[42:43] op_sel_hi:[1,0]
	v_pk_fma_f32 v[94:95], v[62:63], s[10:11], v[96:97] op_sel:[0,0,1] op_sel_hi:[1,0,0] neg_lo:[0,0,1] neg_hi:[0,0,1]
	v_pk_fma_f32 v[96:97], v[62:63], s[10:11], v[96:97] op_sel:[0,0,1] op_sel_hi:[1,0,0]
	v_mov_b32_e32 v100, v94
	v_mov_b32_e32 v101, v97
	v_pk_add_f32 v[102:103], v[100:101], v[98:99]
	v_pk_mul_f32 v[100:101], v[68:69], s[54:55] op_sel_hi:[1,0]
	v_pk_fma_f32 v[182:183], v[44:45], s[36:37], v[180:181] op_sel:[0,0,1] op_sel_hi:[1,0,0] neg_lo:[0,0,1] neg_hi:[0,0,1]
	v_pk_fma_f32 v[98:99], v[66:67], s[8:9], v[100:101] op_sel:[0,0,1] op_sel_hi:[1,0,0] neg_lo:[0,0,1] neg_hi:[0,0,1]
	v_pk_fma_f32 v[100:101], v[66:67], s[8:9], v[100:101] op_sel:[0,0,1] op_sel_hi:[1,0,0]
	v_mov_b32_e32 v104, v98
	v_mov_b32_e32 v105, v101
	v_pk_add_f32 v[140:141], v[104:105], v[102:103]
	v_pk_mul_f32 v[104:105], v[50:51], s[38:39] op_sel_hi:[1,0]
	v_pk_fma_f32 v[180:181], v[44:45], s[36:37], v[180:181] op_sel:[0,0,1] op_sel_hi:[1,0,0]
	v_pk_fma_f32 v[102:103], v[48:49], s[20:21], v[104:105] op_sel:[0,0,1] op_sel_hi:[1,0,0] neg_lo:[0,0,1] neg_hi:[0,0,1]
	v_pk_fma_f32 v[104:105], v[48:49], s[20:21], v[104:105] op_sel:[0,0,1] op_sel_hi:[1,0,0]
	v_mov_b32_e32 v112, v102
	v_mov_b32_e32 v113, v105
	v_pk_add_f32 v[116:117], v[112:113], v[0:1]
	v_pk_fma_f32 v[112:113], v[44:45], s[22:23], v[114:115] op_sel:[0,0,1] op_sel_hi:[1,0,0] neg_lo:[0,0,1] neg_hi:[0,0,1]
	v_pk_fma_f32 v[114:115], v[44:45], s[22:23], v[114:115] op_sel:[0,0,1] op_sel_hi:[1,0,0]
	v_mov_b32_e32 v118, v112
	v_mov_b32_e32 v119, v115
	v_pk_add_f32 v[120:121], v[118:119], v[116:117]
	v_pk_mul_f32 v[118:119], v[40:41], s[54:55] op_sel_hi:[1,0]
	v_mov_b32_e32 v184, v182
	v_pk_fma_f32 v[116:117], v[38:39], s[8:9], v[118:119] op_sel:[0,0,1] op_sel_hi:[1,0,0] neg_lo:[0,0,1] neg_hi:[0,0,1]
	v_pk_fma_f32 v[118:119], v[38:39], s[8:9], v[118:119] op_sel:[0,0,1] op_sel_hi:[1,0,0]
	v_mov_b32_e32 v122, v116
	v_mov_b32_e32 v123, v119
	v_pk_add_f32 v[124:125], v[122:123], v[120:121]
	v_pk_mul_f32 v[122:123], v[36:37], s[52:53] op_sel_hi:[1,0]
	v_mov_b32_e32 v185, v181
	v_pk_fma_f32 v[120:121], v[34:35], s[36:37], v[122:123] op_sel:[0,0,1] op_sel_hi:[1,0,0] neg_lo:[0,0,1] neg_hi:[0,0,1]
	v_pk_fma_f32 v[122:123], v[34:35], s[36:37], v[122:123] op_sel:[0,0,1] op_sel_hi:[1,0,0]
	v_mov_b32_e32 v126, v120
	v_mov_b32_e32 v127, v123
	v_pk_add_f32 v[128:129], v[126:127], v[124:125]
	v_pk_mul_f32 v[126:127], v[54:55], s[26:27] op_sel_hi:[1,0]
	v_pk_mul_f32 v[46:47], v[46:47], s[48:49] op_sel_hi:[1,0]
	v_pk_fma_f32 v[124:125], v[52:53], s[24:25], v[126:127] op_sel:[0,0,1] op_sel_hi:[1,0,0] neg_lo:[0,0,1] neg_hi:[0,0,1]
	v_pk_fma_f32 v[126:127], v[52:53], s[24:25], v[126:127] op_sel:[0,0,1] op_sel_hi:[1,0,0]
	v_mov_b32_e32 v130, v124
	v_mov_b32_e32 v131, v127
	v_pk_add_f32 v[132:133], v[130:131], v[128:129]
	v_pk_mul_f32 v[130:131], v[58:59], s[50:51] op_sel_hi:[1,0]
	v_mov_b32_e32 v181, v183
	v_pk_fma_f32 v[128:129], v[56:57], s[4:5], v[130:131] op_sel:[0,0,1] op_sel_hi:[1,0,0] neg_lo:[0,0,1] neg_hi:[0,0,1]
	v_pk_fma_f32 v[130:131], v[56:57], s[4:5], v[130:131] op_sel:[0,0,1] op_sel_hi:[1,0,0]
	v_mov_b32_e32 v134, v128
	v_mov_b32_e32 v135, v131
	v_pk_add_f32 v[136:137], v[134:135], v[132:133]
	v_pk_mul_f32 v[134:135], v[64:65], s[40:41] op_sel_hi:[1,0]
	v_mov_b32_e32 v147, v149
	;; [unrolled: 7-line block ×3, first 2 shown]
	v_pk_fma_f32 v[136:137], v[66:67], s[10:11], v[138:139] op_sel:[0,0,1] op_sel_hi:[1,0,0] neg_lo:[0,0,1] neg_hi:[0,0,1]
	v_pk_fma_f32 v[138:139], v[66:67], s[10:11], v[138:139] op_sel:[0,0,1] op_sel_hi:[1,0,0]
	v_mov_b32_e32 v144, v136
	v_mov_b32_e32 v145, v139
	v_pk_add_f32 v[142:143], v[144:145], v[142:143]
	ds_write2_b64 v107, v[140:141], v[142:143] offset0:4 offset1:5
	v_pk_mul_f32 v[140:141], v[50:51], s[18:19] op_sel_hi:[1,0]
	v_mov_b32_e32 v73, v71
	v_pk_fma_f32 v[142:143], v[48:49], s[10:11], v[140:141] op_sel:[0,0,1] op_sel_hi:[1,0,0] neg_lo:[0,0,1] neg_hi:[0,0,1]
	v_pk_fma_f32 v[140:141], v[48:49], s[10:11], v[140:141] op_sel:[0,0,1] op_sel_hi:[1,0,0]
	v_mov_b32_e32 v144, v142
	v_mov_b32_e32 v145, v141
	v_pk_add_f32 v[144:145], v[144:145], v[0:1]
	v_mov_b32_e32 v141, v143
	v_pk_add_f32 v[144:145], v[150:151], v[144:145]
	v_pk_mul_f32 v[150:151], v[40:41], s[40:41] op_sel_hi:[1,0]
	v_mov_b32_e32 v5, v3
	v_pk_fma_f32 v[152:153], v[38:39], s[30:31], v[150:151] op_sel:[0,0,1] op_sel_hi:[1,0,0] neg_lo:[0,0,1] neg_hi:[0,0,1]
	v_pk_fma_f32 v[150:151], v[38:39], s[30:31], v[150:151] op_sel:[0,0,1] op_sel_hi:[1,0,0]
	v_mov_b32_e32 v154, v152
	v_mov_b32_e32 v155, v151
	v_pk_add_f32 v[144:145], v[154:155], v[144:145]
	v_pk_mul_f32 v[154:155], v[36:37], s[44:45] op_sel_hi:[1,0]
	v_mov_b32_e32 v151, v153
	v_pk_fma_f32 v[156:157], v[34:35], s[22:23], v[154:155] op_sel:[0,0,1] op_sel_hi:[1,0,0] neg_lo:[0,0,1] neg_hi:[0,0,1]
	v_pk_fma_f32 v[154:155], v[34:35], s[22:23], v[154:155] op_sel:[0,0,1] op_sel_hi:[1,0,0]
	v_mov_b32_e32 v158, v156
	v_mov_b32_e32 v159, v155
	v_pk_add_f32 v[144:145], v[158:159], v[144:145]
	v_pk_mul_f32 v[158:159], v[54:55], s[50:51] op_sel_hi:[1,0]
	v_mov_b32_e32 v155, v157
	v_pk_fma_f32 v[160:161], v[52:53], s[4:5], v[158:159] op_sel:[0,0,1] op_sel_hi:[1,0,0] neg_lo:[0,0,1] neg_hi:[0,0,1]
	v_pk_fma_f32 v[158:159], v[52:53], s[4:5], v[158:159] op_sel:[0,0,1] op_sel_hi:[1,0,0]
	v_mov_b32_e32 v162, v160
	v_mov_b32_e32 v163, v159
	v_pk_add_f32 v[144:145], v[162:163], v[144:145]
	v_pk_mul_f32 v[162:163], v[58:59], s[34:35] op_sel_hi:[1,0]
	v_mov_b32_e32 v159, v161
	v_pk_fma_f32 v[164:165], v[56:57], s[8:9], v[162:163] op_sel:[0,0,1] op_sel_hi:[1,0,0] neg_lo:[0,0,1] neg_hi:[0,0,1]
	v_pk_fma_f32 v[162:163], v[56:57], s[8:9], v[162:163] op_sel:[0,0,1] op_sel_hi:[1,0,0]
	v_mov_b32_e32 v166, v164
	v_mov_b32_e32 v167, v163
	v_pk_add_f32 v[144:145], v[166:167], v[144:145]
	v_pk_mul_f32 v[166:167], v[64:65], s[26:27] op_sel_hi:[1,0]
	v_mov_b32_e32 v163, v165
	v_pk_fma_f32 v[168:169], v[62:63], s[24:25], v[166:167] op_sel:[0,0,1] op_sel_hi:[1,0,0] neg_lo:[0,0,1] neg_hi:[0,0,1]
	v_pk_fma_f32 v[166:167], v[62:63], s[24:25], v[166:167] op_sel:[0,0,1] op_sel_hi:[1,0,0]
	v_mov_b32_e32 v170, v168
	v_mov_b32_e32 v171, v167
	v_pk_add_f32 v[144:145], v[170:171], v[144:145]
	v_pk_mul_f32 v[170:171], v[68:69], s[42:43] op_sel_hi:[1,0]
	v_mov_b32_e32 v167, v169
	v_pk_fma_f32 v[172:173], v[66:67], s[36:37], v[170:171] op_sel:[0,0,1] op_sel_hi:[1,0,0] neg_lo:[0,0,1] neg_hi:[0,0,1]
	v_pk_fma_f32 v[170:171], v[66:67], s[36:37], v[170:171] op_sel:[0,0,1] op_sel_hi:[1,0,0]
	v_mov_b32_e32 v174, v172
	v_mov_b32_e32 v175, v171
	v_pk_add_f32 v[144:145], v[174:175], v[144:145]
	v_pk_mul_f32 v[174:175], v[50:51], s[44:45] op_sel_hi:[1,0]
	v_pk_mul_f32 v[50:51], v[50:51], s[26:27] op_sel_hi:[1,0]
	v_pk_fma_f32 v[176:177], v[48:49], s[22:23], v[174:175] op_sel:[0,0,1] op_sel_hi:[1,0,0] neg_lo:[0,0,1] neg_hi:[0,0,1]
	v_pk_fma_f32 v[174:175], v[48:49], s[22:23], v[174:175] op_sel:[0,0,1] op_sel_hi:[1,0,0]
	v_mov_b32_e32 v178, v176
	v_mov_b32_e32 v179, v175
	v_pk_add_f32 v[178:179], v[178:179], v[0:1]
	v_mov_b32_e32 v175, v177
	v_pk_add_f32 v[178:179], v[184:185], v[178:179]
	v_pk_mul_f32 v[184:185], v[40:41], s[28:29] op_sel_hi:[1,0]
	v_pk_mul_f32 v[40:41], v[40:41], s[44:45] op_sel_hi:[1,0]
	v_pk_fma_f32 v[186:187], v[38:39], s[4:5], v[184:185] op_sel:[0,0,1] op_sel_hi:[1,0,0] neg_lo:[0,0,1] neg_hi:[0,0,1]
	v_pk_fma_f32 v[184:185], v[38:39], s[4:5], v[184:185] op_sel:[0,0,1] op_sel_hi:[1,0,0]
	v_mov_b32_e32 v188, v186
	v_mov_b32_e32 v189, v185
	v_pk_add_f32 v[178:179], v[188:189], v[178:179]
	v_pk_mul_f32 v[188:189], v[36:37], s[56:57] op_sel_hi:[1,0]
	v_pk_mul_f32 v[36:37], v[36:37], s[54:55] op_sel_hi:[1,0]
	v_pk_fma_f32 v[190:191], v[34:35], s[10:11], v[188:189] op_sel:[0,0,1] op_sel_hi:[1,0,0] neg_lo:[0,0,1] neg_hi:[0,0,1]
	v_pk_fma_f32 v[188:189], v[34:35], s[10:11], v[188:189] op_sel:[0,0,1] op_sel_hi:[1,0,0]
	v_mov_b32_e32 v192, v190
	v_mov_b32_e32 v193, v189
	v_pk_add_f32 v[178:179], v[192:193], v[178:179]
	v_pk_mul_f32 v[192:193], v[54:55], s[40:41] op_sel_hi:[1,0]
	v_mov_b32_e32 v185, v187
	v_pk_fma_f32 v[194:195], v[52:53], s[30:31], v[192:193] op_sel:[0,0,1] op_sel_hi:[1,0,0] neg_lo:[0,0,1] neg_hi:[0,0,1]
	v_pk_fma_f32 v[192:193], v[52:53], s[30:31], v[192:193] op_sel:[0,0,1] op_sel_hi:[1,0,0]
	v_mov_b32_e32 v196, v194
	v_mov_b32_e32 v197, v193
	v_pk_add_f32 v[178:179], v[196:197], v[178:179]
	v_pk_mul_f32 v[196:197], v[58:59], s[26:27] op_sel_hi:[1,0]
	v_mov_b32_e32 v189, v191
	;; [unrolled: 7-line block ×4, first 2 shown]
	v_pk_fma_f32 v[206:207], v[66:67], s[20:21], v[204:205] op_sel:[0,0,1] op_sel_hi:[1,0,0] neg_lo:[0,0,1] neg_hi:[0,0,1]
	v_pk_fma_f32 v[204:205], v[66:67], s[20:21], v[204:205] op_sel:[0,0,1] op_sel_hi:[1,0,0]
	v_mov_b32_e32 v208, v206
	v_mov_b32_e32 v209, v205
	v_pk_add_f32 v[178:179], v[208:209], v[178:179]
	ds_write2_b64 v107, v[144:145], v[178:179] offset0:6 offset1:7
	v_pk_fma_f32 v[144:145], v[48:49], s[24:25], v[50:51] op_sel:[0,0,1] op_sel_hi:[1,0,0] neg_lo:[0,0,1] neg_hi:[0,0,1]
	v_pk_fma_f32 v[48:49], v[48:49], s[24:25], v[50:51] op_sel:[0,0,1] op_sel_hi:[1,0,0]
	v_pk_fma_f32 v[50:51], v[44:45], s[30:31], v[46:47] op_sel:[0,0,1] op_sel_hi:[1,0,0] neg_lo:[0,0,1] neg_hi:[0,0,1]
	v_pk_fma_f32 v[44:45], v[44:45], s[30:31], v[46:47] op_sel:[0,0,1] op_sel_hi:[1,0,0]
	v_mov_b32_e32 v46, v144
	v_mov_b32_e32 v47, v49
	v_pk_add_f32 v[46:47], v[46:47], v[0:1]
	v_mov_b32_e32 v178, v50
	v_mov_b32_e32 v179, v45
	v_pk_add_f32 v[46:47], v[178:179], v[46:47]
	v_pk_fma_f32 v[178:179], v[38:39], s[22:23], v[40:41] op_sel:[0,0,1] op_sel_hi:[1,0,0] neg_lo:[0,0,1] neg_hi:[0,0,1]
	v_pk_fma_f32 v[38:39], v[38:39], s[22:23], v[40:41] op_sel:[0,0,1] op_sel_hi:[1,0,0]
	v_mov_b32_e32 v40, v178
	v_mov_b32_e32 v41, v39
	v_pk_add_f32 v[40:41], v[40:41], v[46:47]
	v_pk_fma_f32 v[46:47], v[34:35], s[8:9], v[36:37] op_sel:[0,0,1] op_sel_hi:[1,0,0] neg_lo:[0,0,1] neg_hi:[0,0,1]
	v_pk_fma_f32 v[34:35], v[34:35], s[8:9], v[36:37] op_sel:[0,0,1] op_sel_hi:[1,0,0]
	v_mov_b32_e32 v36, v46
	v_mov_b32_e32 v37, v35
	v_pk_add_f32 v[36:37], v[36:37], v[40:41]
	v_pk_mul_f32 v[40:41], v[54:55], s[18:19] op_sel_hi:[1,0]
	v_mov_b32_e32 v49, v145
	v_pk_fma_f32 v[54:55], v[52:53], s[10:11], v[40:41] op_sel:[0,0,1] op_sel_hi:[1,0,0] neg_lo:[0,0,1] neg_hi:[0,0,1]
	v_pk_fma_f32 v[40:41], v[52:53], s[10:11], v[40:41] op_sel:[0,0,1] op_sel_hi:[1,0,0]
	v_mov_b32_e32 v52, v54
	v_mov_b32_e32 v53, v41
	v_pk_add_f32 v[36:37], v[52:53], v[36:37]
	v_pk_mul_f32 v[52:53], v[58:59], s[42:43] op_sel_hi:[1,0]
	v_mov_b32_e32 v45, v51
	v_pk_fma_f32 v[58:59], v[56:57], s[36:37], v[52:53] op_sel:[0,0,1] op_sel_hi:[1,0,0] neg_lo:[0,0,1] neg_hi:[0,0,1]
	v_pk_fma_f32 v[52:53], v[56:57], s[36:37], v[52:53] op_sel:[0,0,1] op_sel_hi:[1,0,0]
	v_mov_b32_e32 v56, v58
	v_mov_b32_e32 v57, v53
	v_pk_add_f32 v[48:49], v[48:49], v[0:1]
	v_pk_add_f32 v[36:37], v[56:57], v[36:37]
	v_pk_mul_f32 v[56:57], v[64:65], s[38:39] op_sel_hi:[1,0]
	v_pk_add_f32 v[44:45], v[44:45], v[48:49]
	v_mov_b32_e32 v39, v179
	v_pk_fma_f32 v[64:65], v[62:63], s[20:21], v[56:57] op_sel:[0,0,1] op_sel_hi:[1,0,0] neg_lo:[0,0,1] neg_hi:[0,0,1]
	v_pk_fma_f32 v[56:57], v[62:63], s[20:21], v[56:57] op_sel:[0,0,1] op_sel_hi:[1,0,0]
	v_pk_add_f32 v[38:39], v[38:39], v[44:45]
	v_mov_b32_e32 v35, v47
	v_mov_b32_e32 v62, v64
	;; [unrolled: 1-line block ×3, first 2 shown]
	v_pk_add_f32 v[34:35], v[34:35], v[38:39]
	v_mov_b32_e32 v41, v55
	v_pk_add_f32 v[36:37], v[62:63], v[36:37]
	v_pk_mul_f32 v[62:63], v[68:69], s[50:51] op_sel_hi:[1,0]
	v_pk_add_f32 v[34:35], v[40:41], v[34:35]
	v_mov_b32_e32 v53, v59
	v_pk_fma_f32 v[68:69], v[66:67], s[4:5], v[62:63] op_sel:[0,0,1] op_sel_hi:[1,0,0] neg_lo:[0,0,1] neg_hi:[0,0,1]
	v_pk_fma_f32 v[62:63], v[66:67], s[4:5], v[62:63] op_sel:[0,0,1] op_sel_hi:[1,0,0]
	v_pk_add_f32 v[34:35], v[52:53], v[34:35]
	v_mov_b32_e32 v57, v65
	v_mov_b32_e32 v66, v68
	;; [unrolled: 1-line block ×3, first 2 shown]
	v_pk_add_f32 v[34:35], v[56:57], v[34:35]
	v_mov_b32_e32 v63, v69
	v_pk_add_f32 v[36:37], v[66:67], v[36:37]
	v_pk_add_f32 v[34:35], v[62:63], v[34:35]
	ds_write2_b64 v107, v[36:37], v[34:35] offset0:8 offset1:9
	v_pk_add_f32 v[34:35], v[174:175], v[0:1]
	v_pk_add_f32 v[36:37], v[140:141], v[0:1]
	;; [unrolled: 1-line block ×11, first 2 shown]
	v_mov_b32_e32 v201, v203
	v_pk_add_f32 v[36:37], v[162:163], v[36:37]
	v_pk_add_f32 v[34:35], v[200:201], v[34:35]
	v_mov_b32_e32 v205, v207
	v_pk_add_f32 v[36:37], v[166:167], v[36:37]
	v_mov_b32_e32 v171, v173
	v_pk_add_f32 v[34:35], v[204:205], v[34:35]
	v_pk_add_f32 v[36:37], v[170:171], v[36:37]
	ds_write2_b64 v107, v[34:35], v[36:37] offset0:10 offset1:11
	v_pk_add_f32 v[34:35], v[104:105], v[0:1]
	v_mov_b32_e32 v115, v113
	v_pk_add_f32 v[36:37], v[72:73], v[0:1]
	v_mov_b32_e32 v77, v75
	;; [unrolled: 2-line block ×21, first 2 shown]
	v_mov_b32_e32 v171, v2
	v_pk_add_f32 v[34:35], v[138:139], v[34:35]
	v_pk_add_f32 v[36:37], v[100:101], v[36:37]
	;; [unrolled: 1-line block ×3, first 2 shown]
	ds_write2_b64 v107, v[34:35], v[36:37] offset0:12 offset1:13
	ds_write2_b64 v107, v[0:1], v[42:43] offset0:14 offset1:15
	ds_write_b64 v107, v[32:33] offset:128
.LBB0_7:
	s_or_b64 exec, exec, s[0:1]
	s_mov_b64 s[0:1], 0x132
	s_load_dwordx4 s[8:11], s[2:3], 0x0
	v_lshl_add_u64 v[0:1], v[108:109], 0, s[0:1]
	s_mov_b32 s2, 0xf0f1
	v_mul_u32_u24_sdwa v1, v0, s2 dst_sel:DWORD dst_unused:UNUSED_PAD src0_sel:WORD_0 src1_sel:DWORD
	s_mov_b64 s[0:1], 0x198
	v_lshrrev_b32_e32 v40, 20, v1
	v_lshl_add_u64 v[2:3], v[108:109], 0, s[0:1]
	v_mul_lo_u16_e32 v1, 17, v40
	v_sub_u16_e32 v41, v0, v1
	v_mul_u32_u24_sdwa v1, v2, s2 dst_sel:DWORD dst_unused:UNUSED_PAD src0_sel:WORD_0 src1_sel:DWORD
	v_lshrrev_b32_e32 v66, 20, v1
	v_mul_lo_u16_e32 v1, 17, v66
	v_sub_u16_e32 v67, v2, v1
	v_lshlrev_b16_e32 v0, 1, v41
	v_lshlrev_b16_e32 v1, 1, v67
	s_mov_b64 s[0:1], 0xcc
	v_lshlrev_b32_e32 v1, 3, v1
	v_lshlrev_b32_e32 v0, 3, v0
	v_lshl_add_u64 v[76:77], v[108:109], 0, s[0:1]
	s_waitcnt lgkmcnt(0)
	s_barrier
	global_load_dwordx4 v[24:27], v1, s[14:15]
	global_load_dwordx4 v[20:23], v0, s[14:15]
	v_mul_u32_u24_sdwa v0, v76, s2 dst_sel:DWORD dst_unused:UNUSED_PAD src0_sel:WORD_0 src1_sel:DWORD
	v_lshrrev_b32_e32 v44, 20, v0
	v_mul_lo_u16_e32 v0, 17, v44
	v_sub_u16_e32 v45, v76, v0
	v_lshlrev_b16_e32 v0, 1, v45
	s_mov_b64 s[0:1], 0x66
	v_lshlrev_b32_e32 v0, 3, v0
	s_movk_i32 s2, 0xf1
	v_lshl_add_u64 v[82:83], v[108:109], 0, s[0:1]
	global_load_dwordx4 v[16:19], v0, s[14:15]
	v_mul_lo_u16_sdwa v0, v82, s2 dst_sel:DWORD dst_unused:UNUSED_PAD src0_sel:BYTE_0 src1_sel:DWORD
	v_lshrrev_b16_e32 v46, 12, v0
	v_mul_lo_u16_e32 v0, 17, v46
	v_sub_u16_e32 v0, v82, v0
	v_and_b32_e32 v47, 0xff, v0
	v_lshlrev_b32_e32 v0, 4, v47
	global_load_dwordx4 v[12:15], v0, s[14:15]
	v_mul_lo_u16_sdwa v0, v108, s2 dst_sel:DWORD dst_unused:UNUSED_PAD src0_sel:BYTE_0 src1_sel:DWORD
	v_lshrrev_b16_e32 v28, 12, v0
	v_mul_lo_u16_e32 v0, 17, v28
	v_sub_u16_e32 v0, v108, v0
	v_and_b32_e32 v48, 0xff, v0
	v_lshlrev_b32_e32 v0, 4, v48
	global_load_dwordx4 v[8:11], v0, s[14:15]
	v_mov_b32_e32 v0, 3
	v_lshlrev_b32_sdwa v109, v0, v108 dst_sel:DWORD dst_unused:UNUSED_PAD src0_sel:DWORD src1_sel:WORD_0
	v_add_u32_e32 v0, 0x800, v109
	v_add_u32_e32 v4, 0x1800, v109
	ds_read_b64 v[38:39], v109 offset:11424
	ds_read2_b64 v[0:3], v0 offset0:152 offset1:254
	ds_read2_b64 v[4:7], v4 offset0:48 offset1:150
	v_mad_legacy_u16 v44, v44, 51, v45
	v_mad_legacy_u16 v40, v40, 51, v41
	v_mul_u32_u24_e32 v46, 51, v46
	v_lshlrev_b32_e32 v118, 3, v44
	v_lshlrev_b32_e32 v111, 3, v40
	v_add_u32_e32 v68, 0x400, v109
	v_add_lshl_u32 v119, v46, v47, 3
	v_add_u32_e32 v86, 0x2400, v109
	v_mul_u32_u24_e32 v49, 51, v28
	ds_read2_b64 v[28:31], v68 offset0:76 offset1:178
	ds_read2_b64 v[34:37], v86 offset0:72 offset1:174
	s_mov_b32 s0, 0x3f5db3d7
	v_add_lshl_u32 v170, v49, v48, 3
	v_add_u32_e32 v87, 0x1c00, v109
	v_cmp_gt_u16_e64 s[2:3], 51, v108
	v_cmp_lt_u16_e64 s[4:5], 50, v108
	s_waitcnt vmcnt(4) lgkmcnt(2)
	v_pk_mul_f32 v[40:41], v[6:7], v[24:25] op_sel:[0,1]
	v_mov_b32_e32 v44, v27
	s_waitcnt vmcnt(3)
	v_pk_mul_f32 v[46:47], v[4:5], v[20:21] op_sel:[0,1]
	v_pk_fma_f32 v[52:53], v[6:7], v[24:25], v[40:41] op_sel:[0,0,1] op_sel_hi:[1,1,0] neg_lo:[0,0,1] neg_hi:[0,0,1]
	v_pk_fma_f32 v[6:7], v[6:7], v[24:25], v[40:41] op_sel:[0,0,1] op_sel_hi:[1,0,0]
	v_pk_mul_f32 v[40:41], v[38:39], v[44:45] op_sel_hi:[1,0]
	v_pk_fma_f32 v[54:55], v[4:5], v[20:21], v[46:47] op_sel:[0,0,1] op_sel_hi:[1,1,0] neg_lo:[0,0,1] neg_hi:[0,0,1]
	v_pk_fma_f32 v[4:5], v[4:5], v[20:21], v[46:47] op_sel:[0,0,1] op_sel_hi:[1,0,0]
	v_mov_b32_e32 v53, v7
	v_pk_fma_f32 v[6:7], v[38:39], v[26:27], v[40:41] op_sel:[0,0,1] op_sel_hi:[1,1,0] neg_lo:[0,0,1] neg_hi:[0,0,1]
	v_pk_fma_f32 v[38:39], v[38:39], v[26:27], v[40:41] op_sel:[0,0,1] op_sel_hi:[1,0,0]
	v_mov_b32_e32 v55, v5
	v_mov_b32_e32 v7, v39
	v_pk_add_f32 v[4:5], v[0:1], v[52:53]
	v_mov_b32_e32 v50, v23
	v_pk_add_f32 v[48:49], v[4:5], v[6:7]
	v_pk_add_f32 v[4:5], v[52:53], v[6:7]
	v_pk_add_f32 v[6:7], v[52:53], v[6:7] neg_lo:[0,1] neg_hi:[0,1]
	v_pk_fma_f32 v[0:1], v[4:5], 0.5, v[0:1] op_sel_hi:[1,0,1] neg_lo:[1,0,0] neg_hi:[1,0,0]
	v_pk_mul_f32 v[4:5], v[6:7], s[0:1] op_sel_hi:[1,0]
	ds_read2_b64 v[44:47], v87 offset0:124 offset1:226
	v_pk_add_f32 v[40:41], v[0:1], v[4:5] op_sel:[0,1] op_sel_hi:[1,0] neg_lo:[0,1] neg_hi:[0,1]
	v_pk_add_f32 v[84:85], v[4:5], v[0:1] op_sel:[1,0] op_sel_hi:[0,1]
	v_add_u32_e32 v4, 0x1000, v109
	s_waitcnt lgkmcnt(1)
	v_pk_mul_f32 v[0:1], v[36:37], v[50:51] op_sel_hi:[1,0]
	ds_read2_b64 v[4:7], v4 offset0:100 offset1:202
	v_pk_fma_f32 v[38:39], v[36:37], v[22:23], v[0:1] op_sel:[0,0,1] op_sel_hi:[1,1,0] neg_lo:[0,0,1] neg_hi:[0,0,1]
	v_pk_fma_f32 v[0:1], v[36:37], v[22:23], v[0:1] op_sel:[0,0,1] op_sel_hi:[1,0,0]
	s_waitcnt vmcnt(1) lgkmcnt(0)
	v_pk_mul_f32 v[60:61], v[4:5], v[12:13] op_sel:[0,1]
	v_mov_b32_e32 v39, v1
	v_pk_add_f32 v[0:1], v[54:55], v[38:39]
	v_pk_add_f32 v[36:37], v[54:55], v[38:39] neg_lo:[0,1] neg_hi:[0,1]
	v_pk_fma_f32 v[0:1], v[0:1], 0.5, v[30:31] op_sel_hi:[1,0,1] neg_lo:[1,0,0] neg_hi:[1,0,0]
	v_pk_mul_f32 v[36:37], v[36:37], s[0:1] op_sel_hi:[1,0]
	v_pk_fma_f32 v[62:63], v[4:5], v[12:13], v[60:61] op_sel:[0,0,1] op_sel_hi:[1,1,0] neg_lo:[0,0,1] neg_hi:[0,0,1]
	v_pk_add_f32 v[50:51], v[0:1], v[36:37] op_sel:[0,1] op_sel_hi:[1,0] neg_lo:[0,1] neg_hi:[0,1]
	v_pk_add_f32 v[0:1], v[0:1], v[36:37] op_sel:[0,1] op_sel_hi:[1,0]
	v_pk_mul_f32 v[36:37], v[6:7], v[16:17] op_sel:[0,1]
	v_pk_fma_f32 v[4:5], v[4:5], v[12:13], v[60:61] op_sel:[0,0,1] op_sel_hi:[1,0,0]
	v_pk_fma_f32 v[52:53], v[6:7], v[16:17], v[36:37] op_sel:[0,0,1] op_sel_hi:[1,1,0] neg_lo:[0,0,1] neg_hi:[0,0,1]
	v_pk_fma_f32 v[6:7], v[6:7], v[16:17], v[36:37] op_sel:[0,0,1] op_sel_hi:[1,0,0]
	v_mov_b32_e32 v4, v15
	v_mov_b32_e32 v6, v19
	;; [unrolled: 1-line block ×3, first 2 shown]
	v_pk_mul_f32 v[6:7], v[34:35], v[6:7] op_sel_hi:[1,0]
	v_mov_b32_e32 v63, v5
	v_pk_fma_f32 v[56:57], v[34:35], v[18:19], v[6:7] op_sel:[0,0,1] op_sel_hi:[1,1,0] neg_lo:[0,0,1] neg_hi:[0,0,1]
	v_pk_fma_f32 v[6:7], v[34:35], v[18:19], v[6:7] op_sel:[0,0,1] op_sel_hi:[1,0,0]
	v_pk_mul_f32 v[4:5], v[46:47], v[4:5] op_sel_hi:[1,0]
	v_mov_b32_e32 v57, v7
	v_pk_add_f32 v[6:7], v[52:53], v[56:57]
	v_pk_add_f32 v[34:35], v[52:53], v[56:57] neg_lo:[0,1] neg_hi:[0,1]
	v_pk_fma_f32 v[60:61], v[46:47], v[14:15], v[4:5] op_sel:[0,0,1] op_sel_hi:[1,1,0] neg_lo:[0,0,1] neg_hi:[0,0,1]
	v_pk_fma_f32 v[4:5], v[46:47], v[14:15], v[4:5] op_sel:[0,0,1] op_sel_hi:[1,0,0]
	s_waitcnt vmcnt(0)
	v_pk_mul_f32 v[46:47], v[2:3], v[8:9] op_sel:[0,1]
	v_pk_fma_f32 v[6:7], v[6:7], 0.5, v[28:29] op_sel_hi:[1,0,1] neg_lo:[1,0,0] neg_hi:[1,0,0]
	v_pk_mul_f32 v[34:35], v[34:35], s[0:1] op_sel_hi:[1,0]
	v_pk_fma_f32 v[64:65], v[2:3], v[8:9], v[46:47] op_sel:[0,0,1] op_sel_hi:[1,1,0] neg_lo:[0,0,1] neg_hi:[0,0,1]
	v_pk_fma_f32 v[2:3], v[2:3], v[8:9], v[46:47] op_sel:[0,0,1] op_sel_hi:[1,0,0]
	v_pk_add_f32 v[58:59], v[6:7], v[34:35] op_sel:[0,1] op_sel_hi:[1,0] neg_lo:[0,1] neg_hi:[0,1]
	v_pk_add_f32 v[6:7], v[6:7], v[34:35] op_sel:[0,1] op_sel_hi:[1,0]
	ds_read2_b64 v[34:37], v109 offset1:102
	v_mov_b32_e32 v2, v11
	v_mov_b32_e32 v65, v3
	v_pk_mul_f32 v[2:3], v[44:45], v[2:3] op_sel_hi:[1,0]
	v_mov_b32_e32 v61, v5
	v_pk_fma_f32 v[46:47], v[44:45], v[10:11], v[2:3] op_sel:[0,0,1] op_sel_hi:[1,1,0] neg_lo:[0,0,1] neg_hi:[0,0,1]
	v_pk_fma_f32 v[2:3], v[44:45], v[10:11], v[2:3] op_sel:[0,0,1] op_sel_hi:[1,0,0]
	s_waitcnt lgkmcnt(0)
	v_mov_b32_e32 v47, v3
	v_pk_add_f32 v[44:45], v[64:65], v[46:47]
	v_pk_add_f32 v[2:3], v[34:35], v[64:65]
	v_pk_fma_f32 v[34:35], v[44:45], 0.5, v[34:35] op_sel_hi:[1,0,1] neg_lo:[1,0,0] neg_hi:[1,0,0]
	v_pk_add_f32 v[44:45], v[64:65], v[46:47] neg_lo:[0,1] neg_hi:[0,1]
	v_pk_add_f32 v[2:3], v[2:3], v[46:47]
	v_pk_mul_f32 v[44:45], v[44:45], s[0:1] op_sel_hi:[1,0]
	s_barrier
	v_pk_add_f32 v[46:47], v[34:35], v[44:45] op_sel:[0,1] op_sel_hi:[1,0]
	v_pk_add_f32 v[34:35], v[34:35], v[44:45] op_sel:[0,1] op_sel_hi:[1,0] neg_lo:[0,1] neg_hi:[0,1]
	v_mov_b32_e32 v44, v46
	v_mov_b32_e32 v45, v35
	;; [unrolled: 1-line block ×3, first 2 shown]
	ds_write2_b64 v170, v[2:3], v[44:45] offset1:17
	ds_write_b64 v170, v[34:35] offset:272
	v_pk_add_f32 v[2:3], v[62:63], v[60:61]
	v_pk_add_f32 v[34:35], v[62:63], v[60:61] neg_lo:[0,1] neg_hi:[0,1]
	v_pk_fma_f32 v[2:3], v[2:3], 0.5, v[36:37] op_sel_hi:[1,0,1] neg_lo:[1,0,0] neg_hi:[1,0,0]
	v_pk_mul_f32 v[34:35], v[34:35], s[0:1] op_sel_hi:[1,0]
	v_pk_add_f32 v[4:5], v[36:37], v[62:63]
	v_pk_add_f32 v[36:37], v[2:3], v[34:35] op_sel:[0,1] op_sel_hi:[1,0]
	v_pk_add_f32 v[2:3], v[2:3], v[34:35] op_sel:[0,1] op_sel_hi:[1,0] neg_lo:[0,1] neg_hi:[0,1]
	v_pk_add_f32 v[4:5], v[4:5], v[60:61]
	v_mov_b32_e32 v35, v3
	v_mov_b32_e32 v3, v37
	;; [unrolled: 1-line block ×3, first 2 shown]
	ds_write_b64 v119, v[2:3] offset:272
	v_pk_add_f32 v[2:3], v[28:29], v[52:53]
	ds_write2_b64 v119, v[4:5], v[34:35] offset1:17
	v_pk_add_f32 v[2:3], v[2:3], v[56:57]
	v_mov_b32_e32 v4, v6
	v_mov_b32_e32 v5, v59
	ds_write2_b64 v118, v[2:3], v[4:5] offset1:17
	v_pk_add_f32 v[2:3], v[30:31], v[54:55]
	v_mov_b32_e32 v4, v0
	v_mad_legacy_u16 v0, v66, 51, v67
	v_mov_b32_e32 v59, v7
	v_pk_add_f32 v[2:3], v[2:3], v[38:39]
	v_mov_b32_e32 v5, v51
	v_mov_b32_e32 v51, v1
	v_lshlrev_b32_e32 v249, 3, v0
	v_mov_b32_e32 v0, v84
	v_mov_b32_e32 v1, v41
	ds_write_b64 v118, v[58:59] offset:272
	ds_write2_b64 v111, v[2:3], v[4:5] offset1:17
	ds_write_b64 v111, v[50:51] offset:272
	ds_write2_b64 v249, v[48:49], v[0:1] offset1:17
	v_mov_b32_e32 v0, v40
	v_mov_b32_e32 v1, v85
	ds_write_b64 v249, v[0:1] offset:272
	v_add_u32_e32 v0, 0xc00, v109
	s_waitcnt lgkmcnt(0)
	s_barrier
	ds_read2_b64 v[44:47], v109 offset1:102
	ds_read2_b64 v[78:81], v68 offset0:127 offset1:229
	ds_read2_b64 v[72:75], v0 offset0:126 offset1:228
	v_add_u32_e32 v0, 0x1400, v109
	ds_read2_b64 v[68:71], v0 offset0:125 offset1:227
	ds_read2_b64 v[64:67], v87 offset0:124 offset1:226
	;; [unrolled: 1-line block ×3, first 2 shown]
                                        ; implicit-def: $vgpr50
                                        ; implicit-def: $vgpr86
	s_and_saveexec_b64 s[0:1], s[4:5]
	s_xor_b64 s[0:1], exec, s[0:1]
; %bb.8:
	v_mov_b32_e32 v50, v33
	v_mov_b32_e32 v86, v43
; %bb.9:
	s_or_saveexec_b64 s[0:1], s[0:1]
                                        ; implicit-def: $vgpr88
	s_xor_b64 exec, exec, s[0:1]
	s_cbranch_execz .LBB0_11
; %bb.10:
	v_add_u32_e32 v0, 0x660, v109
	ds_read2_b64 v[48:51], v0 offset1:255
	v_add_u32_e32 v0, 0x1650, v109
	ds_read2_b64 v[40:43], v0 offset1:255
	;; [unrolled: 2-line block ×3, first 2 shown]
	s_waitcnt lgkmcnt(2)
	v_mov_b32_e32 v84, v50
	s_waitcnt lgkmcnt(1)
	v_mov_b32_e32 v85, v41
	v_mov_b32_e32 v41, v51
	;; [unrolled: 1-line block ×3, first 2 shown]
	s_waitcnt lgkmcnt(0)
	v_mov_b32_e32 v50, v33
	v_mov_b32_e32 v88, v35
.LBB0_11:
	s_or_b64 exec, exec, s[0:1]
	v_subrev_u32_e32 v0, 51, v108
	v_cndmask_b32_e64 v2, v0, v108, s[2:3]
	v_mul_hi_i32_i24_e32 v1, 40, v2
	v_mul_i32_i24_e32 v0, 40, v2
	s_mov_b32 s0, 0xa0a1
	v_lshl_add_u64 v[56:57], s[14:15], 0, v[0:1]
	v_mul_u32_u24_sdwa v0, v76, s0 dst_sel:DWORD dst_unused:UNUSED_PAD src0_sel:WORD_0 src1_sel:DWORD
	v_lshrrev_b32_e32 v0, 21, v0
	v_mul_lo_u16_e32 v0, 51, v0
	global_load_dwordx4 v[28:31], v[56:57], off offset:272
	v_sub_u16_e32 v3, v76, v0
	v_mul_lo_u16_e32 v0, 40, v3
	v_mov_b32_e32 v1, 0
	v_lshl_add_u64 v[58:59], s[14:15], 0, v[0:1]
	global_load_dwordx4 v[112:115], v[58:59], off offset:272
	global_load_dwordx4 v[238:241], v[58:59], off offset:288
	global_load_dwordx2 v[116:117], v[58:59], off offset:304
	global_load_dwordx4 v[36:39], v[56:57], off offset:288
	global_load_dwordx2 v[254:255], v[56:57], off offset:304
	s_movk_i32 s1, 0xa1
	v_mov_b32_e32 v0, 0x132
	v_mul_lo_u16_sdwa v1, v82, s1 dst_sel:DWORD dst_unused:UNUSED_PAD src0_sel:BYTE_0 src1_sel:DWORD
	v_cmp_lt_u16_e32 vcc, 50, v108
	v_lshrrev_b16_e32 v1, 13, v1
	s_mov_b32 s0, 0x3f5db3d7
	v_cndmask_b32_e32 v0, 0, v0, vcc
	v_add_lshl_u32 v248, v2, v0, 3
	v_mul_lo_u16_e32 v0, 51, v1
	v_sub_u16_e32 v0, v82, v0
	v_and_b32_e32 v0, 0xff, v0
	v_mad_u64_u32 v[90:91], s[20:21], v0, 40, s[14:15]
	global_load_dwordx2 v[252:253], v[90:91], off offset:304
	global_load_dwordx4 v[56:59], v[90:91], off offset:288
	global_load_dwordx4 v[60:63], v[90:91], off offset:272
	s_mov_b32 s18, 0.5
	s_mov_b32 s19, s0
	s_waitcnt lgkmcnt(0)
	s_barrier
	v_mul_u32_u24_e32 v1, 0x132, v1
	v_add_lshl_u32 v251, v1, v0, 3
	v_lshlrev_b32_e32 v250, 3, v3
	s_waitcnt vmcnt(8)
	v_pk_mul_f32 v[90:91], v[78:79], v[28:29] op_sel:[0,1]
	v_mov_b32_e32 v92, v31
	v_pk_fma_f32 v[94:95], v[78:79], v[28:29], v[90:91] op_sel:[0,0,1] op_sel_hi:[1,1,0] neg_lo:[0,0,1] neg_hi:[0,0,1]
	v_pk_fma_f32 v[78:79], v[78:79], v[28:29], v[90:91] op_sel:[0,0,1] op_sel_hi:[1,0,0]
	v_pk_mul_f32 v[90:91], v[72:73], v[92:93] op_sel_hi:[1,0]
	v_mov_b32_e32 v95, v79
	s_waitcnt vmcnt(7)
	v_pk_mul_f32 v[78:79], v[84:85], v[114:115] op_sel:[1,0]
	s_waitcnt vmcnt(6)
	v_pk_mul_f32 v[50:51], v[50:51], v[240:241] op_sel_hi:[0,1]
	v_pk_mul_f32 v[92:93], v[40:41], v[112:113] op_sel:[1,0]
	v_pk_mul_f32 v[86:87], v[86:87], v[238:239] op_sel_hi:[0,1]
	s_waitcnt vmcnt(5)
	v_pk_mul_f32 v[88:89], v[88:89], v[116:117] op_sel_hi:[0,1]
	v_pk_fma_f32 v[96:97], v[40:41], v[114:115], v[78:79] op_sel:[0,0,1] op_sel_hi:[1,1,0] neg_lo:[0,0,1] neg_hi:[0,0,1]
	v_pk_fma_f32 v[40:41], v[40:41], v[114:115], v[78:79] op_sel:[0,0,1] op_sel_hi:[0,1,0]
	v_pk_fma_f32 v[78:79], v[32:33], v[240:241], v[50:51] op_sel:[0,0,1] op_sel_hi:[1,1,0] neg_lo:[0,0,1] neg_hi:[0,0,1]
	v_pk_fma_f32 v[32:33], v[32:33], v[240:241], v[50:51] op_sel:[0,0,1] op_sel_hi:[0,1,0]
	;; [unrolled: 2-line block ×5, first 2 shown]
	v_mov_b32_e32 v97, v41
	v_mov_b32_e32 v79, v33
	;; [unrolled: 1-line block ×5, first 2 shown]
	v_pk_add_f32 v[32:33], v[96:97], v[78:79]
	v_pk_add_f32 v[34:35], v[96:97], v[78:79] neg_lo:[0,1] neg_hi:[0,1]
	v_pk_add_f32 v[84:85], v[92:93], v[86:87]
	v_pk_add_f32 v[40:41], v[48:49], v[96:97]
	;; [unrolled: 1-line block ×3, first 2 shown]
	v_pk_add_f32 v[88:89], v[92:93], v[86:87] neg_lo:[0,1] neg_hi:[0,1]
	v_pk_fma_f32 v[48:49], v[32:33], 0.5, v[48:49] op_sel_hi:[1,0,1] neg_lo:[1,0,0] neg_hi:[1,0,0]
	v_pk_mul_f32 v[34:35], v[34:35], s[0:1] op_sel_hi:[1,0]
	v_pk_fma_f32 v[50:51], v[84:85], 0.5, v[50:51] op_sel_hi:[1,0,1] neg_lo:[1,0,0] neg_hi:[1,0,0]
	v_pk_add_f32 v[32:33], v[40:41], v[78:79]
	v_pk_add_f32 v[42:43], v[42:43], v[86:87]
	v_pk_add_f32 v[84:85], v[48:49], v[34:35] op_sel:[0,1] op_sel_hi:[1,0]
	v_pk_add_f32 v[40:41], v[48:49], v[34:35] op_sel:[0,1] op_sel_hi:[1,0] neg_lo:[0,1] neg_hi:[0,1]
	v_pk_fma_f32 v[34:35], v[88:89], s[0:1], v[50:51] op_sel:[0,0,1] op_sel_hi:[1,0,0]
	v_pk_fma_f32 v[86:87], v[88:89], s[0:1], v[50:51] op_sel:[0,0,1] op_sel_hi:[1,0,0] neg_lo:[1,0,0] neg_hi:[1,0,0]
	s_mov_b32 s1, s18
	v_mov_b32_e32 v48, v84
	v_mov_b32_e32 v49, v41
	;; [unrolled: 1-line block ×5, first 2 shown]
	v_pk_mul_f32 v[34:35], v[34:35], s[18:19] op_sel:[1,0]
	v_pk_add_f32 v[78:79], v[32:33], v[42:43] neg_lo:[0,1] neg_hi:[0,1]
	v_pk_fma_f32 v[50:51], v[86:87], s[0:1], v[34:35]
	v_pk_fma_f32 v[34:35], v[86:87], s[0:1], v[34:35] op_sel_hi:[0,1,1] neg_lo:[0,0,1] neg_hi:[0,0,1]
	s_mov_b32 s1, 0xbf5db3d7
	v_pk_mul_f32 v[86:87], v[84:85], 0.5 op_sel_hi:[1,0]
	v_mov_b32_e32 v51, v35
	v_pk_fma_f32 v[84:85], v[84:85], s[0:1], v[86:87] op_sel:[0,0,1] op_sel_hi:[1,1,0] neg_lo:[0,0,1] neg_hi:[0,0,1]
	v_pk_fma_f32 v[86:87], v[72:73], v[30:31], v[90:91] op_sel:[0,0,1] op_sel_hi:[1,1,0] neg_lo:[0,0,1] neg_hi:[0,0,1]
	v_pk_fma_f32 v[72:73], v[72:73], v[30:31], v[90:91] op_sel:[0,0,1] op_sel_hi:[1,0,0]
	v_pk_add_f32 v[6:7], v[48:49], v[50:51] neg_lo:[0,1] neg_hi:[0,1]
	v_mov_b32_e32 v87, v73
	s_waitcnt vmcnt(4)
	v_pk_mul_f32 v[72:73], v[68:69], v[36:37] op_sel:[0,1]
	v_pk_add_f32 v[244:245], v[40:41], v[84:85] neg_lo:[0,1] neg_hi:[0,1]
	v_pk_fma_f32 v[88:89], v[68:69], v[36:37], v[72:73] op_sel:[0,0,1] op_sel_hi:[1,1,0] neg_lo:[0,0,1] neg_hi:[0,0,1]
	v_pk_fma_f32 v[68:69], v[68:69], v[36:37], v[72:73] op_sel:[0,0,1] op_sel_hi:[1,0,0]
	s_nop 0
	v_mov_b32_e32 v68, v39
	v_mov_b32_e32 v89, v69
	v_pk_mul_f32 v[68:69], v[64:65], v[68:69] op_sel_hi:[1,0]
	s_nop 0
	v_pk_fma_f32 v[72:73], v[64:65], v[38:39], v[68:69] op_sel:[0,0,1] op_sel_hi:[1,1,0] neg_lo:[0,0,1] neg_hi:[0,0,1]
	v_pk_fma_f32 v[64:65], v[64:65], v[38:39], v[68:69] op_sel:[0,0,1] op_sel_hi:[1,0,0]
	s_nop 0
	v_mov_b32_e32 v73, v65
	s_waitcnt vmcnt(3)
	v_pk_mul_f32 v[64:65], v[52:53], v[254:255] op_sel:[0,1]
	v_pk_add_f32 v[92:93], v[86:87], v[72:73]
	v_pk_fma_f32 v[68:69], v[52:53], v[254:255], v[64:65] op_sel:[0,0,1] op_sel_hi:[1,1,0] neg_lo:[0,0,1] neg_hi:[0,0,1]
	v_pk_fma_f32 v[52:53], v[52:53], v[254:255], v[64:65] op_sel:[0,0,1] op_sel_hi:[1,0,0]
	v_pk_add_f32 v[64:65], v[94:95], v[88:89]
	v_mov_b32_e32 v69, v53
	v_pk_add_f32 v[52:53], v[44:45], v[86:87]
	v_pk_fma_f32 v[44:45], v[92:93], 0.5, v[44:45] op_sel_hi:[1,0,1] neg_lo:[1,0,0] neg_hi:[1,0,0]
	v_pk_add_f32 v[92:93], v[88:89], v[68:69]
	v_pk_add_f32 v[64:65], v[64:65], v[68:69]
	v_pk_fma_f32 v[92:93], v[92:93], 0.5, v[94:95] op_sel_hi:[1,0,1] neg_lo:[1,0,0] neg_hi:[1,0,0]
	v_pk_add_f32 v[68:69], v[88:89], v[68:69] neg_lo:[0,1] neg_hi:[0,1]
	v_pk_add_f32 v[52:53], v[52:53], v[72:73]
	v_pk_add_f32 v[72:73], v[86:87], v[72:73] neg_lo:[0,1] neg_hi:[0,1]
	v_pk_fma_f32 v[88:89], v[68:69], s[0:1], v[92:93] op_sel:[0,0,1] op_sel_hi:[1,0,0]
	v_pk_fma_f32 v[68:69], v[68:69], s[0:1], v[92:93] op_sel:[0,0,1] op_sel_hi:[1,0,0] neg_lo:[1,0,0] neg_hi:[1,0,0]
	v_pk_mul_f32 v[72:73], v[72:73], s[0:1] op_sel_hi:[1,0]
	v_mov_b32_e32 v92, v88
	v_mov_b32_e32 v93, v69
	v_mul_f32_e32 v4, 0xbf5db3d7, v89
	v_pk_add_f32 v[86:87], v[72:73], v[44:45] op_sel:[1,0] op_sel_hi:[0,1]
	v_pk_add_f32 v[44:45], v[44:45], v[72:73] op_sel:[0,1] op_sel_hi:[1,0] neg_lo:[0,1] neg_hi:[0,1]
	v_mul_f32_e32 v2, 0x3f5db3d7, v68
	v_fmac_f32_e32 v4, 0.5, v68
	v_pk_mul_f32 v[68:69], v[92:93], 0.5 op_sel_hi:[1,0]
	v_mov_b32_e32 v72, v44
	v_mov_b32_e32 v73, v87
	v_pk_fma_f32 v[68:69], v[92:93], s[0:1], v[68:69] op_sel:[0,0,1] op_sel_hi:[1,1,0] neg_lo:[0,0,1] neg_hi:[0,0,1]
	v_pk_add_f32 v[90:91], v[52:53], v[64:65]
	v_fmac_f32_e32 v2, 0.5, v89
	v_pk_add_f32 v[92:93], v[72:73], v[68:69]
	v_pk_add_f32 v[52:53], v[52:53], v[64:65] neg_lo:[0,1] neg_hi:[0,1]
	v_add_f32_e32 v89, v45, v4
	v_sub_f32_e32 v44, v86, v2
	v_sub_f32_e32 v45, v45, v4
	ds_write2_b64 v248, v[92:93], v[52:53] offset0:102 offset1:153
	v_pk_add_f32 v[52:53], v[72:73], v[68:69] neg_lo:[0,1] neg_hi:[0,1]
	ds_write2_b64 v248, v[44:45], v[52:53] offset0:204 offset1:255
	s_waitcnt vmcnt(0)
	v_pk_mul_f32 v[44:45], v[80:81], v[60:61] op_sel:[0,1]
	v_add_f32_e32 v88, v86, v2
	v_pk_fma_f32 v[52:53], v[80:81], v[60:61], v[44:45] op_sel:[0,0,1] op_sel_hi:[1,1,0] neg_lo:[0,0,1] neg_hi:[0,0,1]
	v_pk_fma_f32 v[44:45], v[80:81], v[60:61], v[44:45] op_sel:[0,0,1] op_sel_hi:[1,0,0]
	ds_write2_b64 v248, v[90:91], v[88:89] offset1:51
	v_mov_b32_e32 v44, v63
	v_mov_b32_e32 v53, v45
	v_pk_mul_f32 v[44:45], v[74:75], v[44:45] op_sel_hi:[1,0]
	s_nop 0
	v_pk_fma_f32 v[64:65], v[74:75], v[62:63], v[44:45] op_sel:[0,0,1] op_sel_hi:[1,1,0] neg_lo:[0,0,1] neg_hi:[0,0,1]
	v_pk_fma_f32 v[44:45], v[74:75], v[62:63], v[44:45] op_sel:[0,0,1] op_sel_hi:[1,0,0]
	s_nop 0
	v_mov_b32_e32 v65, v45
	v_pk_mul_f32 v[44:45], v[70:71], v[56:57] op_sel:[0,1]
	s_nop 0
	v_pk_fma_f32 v[68:69], v[70:71], v[56:57], v[44:45] op_sel:[0,0,1] op_sel_hi:[1,1,0] neg_lo:[0,0,1] neg_hi:[0,0,1]
	v_pk_fma_f32 v[44:45], v[70:71], v[56:57], v[44:45] op_sel:[0,0,1] op_sel_hi:[1,0,0]
	s_nop 0
	v_mov_b32_e32 v44, v59
	v_mov_b32_e32 v69, v45
	v_pk_mul_f32 v[44:45], v[66:67], v[44:45] op_sel_hi:[1,0]
	s_nop 0
	v_pk_fma_f32 v[70:71], v[66:67], v[58:59], v[44:45] op_sel:[0,0,1] op_sel_hi:[1,1,0] neg_lo:[0,0,1] neg_hi:[0,0,1]
	v_pk_fma_f32 v[44:45], v[66:67], v[58:59], v[44:45] op_sel:[0,0,1] op_sel_hi:[1,0,0]
	s_nop 0
	v_mov_b32_e32 v71, v45
	v_pk_mul_f32 v[44:45], v[54:55], v[252:253] op_sel:[0,1]
	v_pk_add_f32 v[74:75], v[64:65], v[70:71]
	v_pk_fma_f32 v[66:67], v[54:55], v[252:253], v[44:45] op_sel:[0,0,1] op_sel_hi:[1,1,0] neg_lo:[0,0,1] neg_hi:[0,0,1]
	v_pk_fma_f32 v[44:45], v[54:55], v[252:253], v[44:45] op_sel:[0,0,1] op_sel_hi:[1,0,0]
	v_pk_add_f32 v[54:55], v[52:53], v[68:69]
	v_mov_b32_e32 v67, v45
	v_pk_add_f32 v[44:45], v[46:47], v[64:65]
	v_pk_fma_f32 v[46:47], v[74:75], 0.5, v[46:47] op_sel_hi:[1,0,1] neg_lo:[1,0,0] neg_hi:[1,0,0]
	v_pk_add_f32 v[74:75], v[68:69], v[66:67]
	v_pk_add_f32 v[54:55], v[54:55], v[66:67]
	v_pk_fma_f32 v[52:53], v[74:75], 0.5, v[52:53] op_sel_hi:[1,0,1] neg_lo:[1,0,0] neg_hi:[1,0,0]
	v_pk_add_f32 v[66:67], v[68:69], v[66:67] neg_lo:[0,1] neg_hi:[0,1]
	v_pk_add_f32 v[64:65], v[64:65], v[70:71] neg_lo:[0,1] neg_hi:[0,1]
	v_pk_fma_f32 v[68:69], v[66:67], s[0:1], v[52:53] op_sel:[0,0,1] op_sel_hi:[1,0,0]
	v_pk_fma_f32 v[52:53], v[66:67], s[0:1], v[52:53] op_sel:[0,0,1] op_sel_hi:[1,0,0] neg_lo:[1,0,0] neg_hi:[1,0,0]
	v_pk_mul_f32 v[64:65], v[64:65], s[0:1] op_sel_hi:[1,0]
	v_mov_b32_e32 v66, v68
	v_mov_b32_e32 v67, v53
	v_mul_f32_e32 v1, 0xbf5db3d7, v69
	v_pk_add_f32 v[44:45], v[44:45], v[70:71]
	v_pk_add_f32 v[70:71], v[64:65], v[46:47] op_sel:[1,0] op_sel_hi:[0,1]
	v_pk_add_f32 v[46:47], v[46:47], v[64:65] op_sel:[0,1] op_sel_hi:[1,0] neg_lo:[0,1] neg_hi:[0,1]
	v_mul_f32_e32 v0, 0x3f5db3d7, v52
	v_fmac_f32_e32 v1, 0.5, v52
	v_pk_mul_f32 v[52:53], v[66:67], 0.5 op_sel_hi:[1,0]
	v_mov_b32_e32 v64, v46
	v_mov_b32_e32 v65, v71
	v_pk_fma_f32 v[52:53], v[66:67], s[0:1], v[52:53] op_sel:[0,0,1] op_sel_hi:[1,1,0] neg_lo:[0,0,1] neg_hi:[0,0,1]
	v_pk_add_f32 v[72:73], v[44:45], v[54:55]
	v_fmac_f32_e32 v0, 0.5, v69
	v_pk_add_f32 v[66:67], v[64:65], v[52:53]
	v_pk_add_f32 v[44:45], v[44:45], v[54:55] neg_lo:[0,1] neg_hi:[0,1]
	v_add_f32_e32 v68, v70, v0
	v_add_f32_e32 v69, v47, v1
	v_sub_f32_e32 v46, v70, v0
	v_sub_f32_e32 v47, v47, v1
	ds_write2_b64 v251, v[66:67], v[44:45] offset0:102 offset1:153
	v_pk_add_f32 v[44:45], v[64:65], v[52:53] neg_lo:[0,1] neg_hi:[0,1]
	ds_write2_b64 v251, v[72:73], v[68:69] offset1:51
	ds_write2_b64 v251, v[46:47], v[44:45] offset0:204 offset1:255
	s_and_saveexec_b64 s[0:1], s[2:3]
	s_cbranch_execz .LBB0_13
; %bb.12:
	v_pk_add_f32 v[32:33], v[32:33], v[42:43]
	v_pk_add_f32 v[42:43], v[48:49], v[50:51]
	v_add_u32_e32 v0, 0x2000, v250
	ds_write2_b64 v0, v[32:33], v[42:43] offset0:200 offset1:251
	v_pk_add_f32 v[32:33], v[40:41], v[84:85]
	v_add_u32_e32 v0, 0x2800, v250
	ds_write2_b64 v0, v[32:33], v[78:79] offset0:46 offset1:97
	ds_write2_b64 v0, v[6:7], v[244:245] offset0:148 offset1:199
.LBB0_13:
	s_or_b64 exec, exec, s[0:1]
	v_lshlrev_b32_e32 v0, 5, v108
	s_waitcnt lgkmcnt(0)
	s_barrier
	global_load_dwordx4 v[52:55], v0, s[14:15] offset:2312
	global_load_dwordx4 v[48:51], v0, s[14:15] offset:2328
	v_lshlrev_b64 v[32:33], 5, v[82:83]
	v_lshl_add_u64 v[32:33], s[14:15], 0, v[32:33]
	global_load_dwordx4 v[44:47], v[32:33], off offset:2312
	global_load_dwordx4 v[40:43], v[32:33], off offset:2328
	v_lshlrev_b64 v[32:33], 5, v[76:77]
	v_add_u32_e32 v0, 0x400, v109
	v_lshl_add_u64 v[32:33], s[14:15], 0, v[32:33]
	ds_read2_b64 v[74:77], v109 offset1:102
	v_add_u32_e32 v1, 0x1000, v109
	v_add_u32_e32 v2, 0x1800, v109
	;; [unrolled: 1-line block ×4, first 2 shown]
	ds_read2_b64 v[80:83], v0 offset0:76 offset1:178
	ds_read2_b64 v[84:87], v1 offset0:100 offset1:202
	;; [unrolled: 1-line block ×5, first 2 shown]
	global_load_dwordx4 v[64:67], v[32:33], off offset:2328
	global_load_dwordx4 v[68:71], v[32:33], off offset:2312
	v_add_u32_e32 v5, 0x1c00, v109
	ds_read2_b64 v[102:105], v5 offset0:124 offset1:226
	s_mov_b32 s0, 0x3f737871
	s_mov_b32 s18, 0x3f167918
	;; [unrolled: 1-line block ×3, first 2 shown]
	s_waitcnt vmcnt(5) lgkmcnt(5)
	v_pk_mul_f32 v[32:33], v[82:83], v[52:53] op_sel:[0,1]
	s_waitcnt vmcnt(4) lgkmcnt(3)
	v_pk_mul_f32 v[88:89], v[92:93], v[48:49] op_sel:[0,1]
	v_mov_b32_e32 v72, v55
	v_mov_b32_e32 v120, v51
	v_pk_fma_f32 v[122:123], v[82:83], v[52:53], v[32:33] op_sel:[0,0,1] op_sel_hi:[1,1,0] neg_lo:[0,0,1] neg_hi:[0,0,1]
	v_pk_fma_f32 v[32:33], v[82:83], v[52:53], v[32:33] op_sel:[0,0,1] op_sel_hi:[1,0,0]
	v_pk_fma_f32 v[82:83], v[92:93], v[48:49], v[88:89] op_sel:[0,0,1] op_sel_hi:[1,0,0]
	v_pk_mul_f32 v[72:73], v[84:85], v[72:73] op_sel_hi:[1,0]
	v_pk_fma_f32 v[124:125], v[92:93], v[48:49], v[88:89] op_sel:[0,0,1] op_sel_hi:[1,1,0] neg_lo:[0,0,1] neg_hi:[0,0,1]
	s_waitcnt lgkmcnt(2)
	v_pk_mul_f32 v[88:89], v[94:95], v[120:121] op_sel_hi:[1,0]
	s_waitcnt vmcnt(3) lgkmcnt(1)
	v_pk_mul_f32 v[92:93], v[98:99], v[44:45] op_sel:[0,1]
	v_mov_b32_e32 v32, v47
	s_waitcnt vmcnt(2) lgkmcnt(0)
	v_pk_mul_f32 v[120:121], v[102:103], v[40:41] op_sel:[0,1]
	v_mov_b32_e32 v82, v43
	v_mov_b32_e32 v123, v33
	v_pk_fma_f32 v[126:127], v[84:85], v[54:55], v[72:73] op_sel:[0,0,1] op_sel_hi:[1,1,0] neg_lo:[0,0,1] neg_hi:[0,0,1]
	v_pk_fma_f32 v[72:73], v[84:85], v[54:55], v[72:73] op_sel:[0,0,1] op_sel_hi:[1,0,0]
	v_mov_b32_e32 v125, v83
	v_pk_fma_f32 v[84:85], v[94:95], v[50:51], v[88:89] op_sel:[0,0,1] op_sel_hi:[1,1,0] neg_lo:[0,0,1] neg_hi:[0,0,1]
	v_pk_fma_f32 v[88:89], v[94:95], v[50:51], v[88:89] op_sel:[0,0,1] op_sel_hi:[1,0,0]
	v_pk_fma_f32 v[94:95], v[98:99], v[44:45], v[92:93] op_sel:[0,0,1] op_sel_hi:[1,1,0] neg_lo:[0,0,1] neg_hi:[0,0,1]
	v_pk_fma_f32 v[92:93], v[98:99], v[44:45], v[92:93] op_sel:[0,0,1] op_sel_hi:[1,0,0]
	v_pk_mul_f32 v[32:33], v[86:87], v[32:33] op_sel_hi:[1,0]
	v_pk_fma_f32 v[98:99], v[102:103], v[40:41], v[120:121] op_sel:[0,0,1] op_sel_hi:[1,1,0] neg_lo:[0,0,1] neg_hi:[0,0,1]
	v_pk_fma_f32 v[102:103], v[102:103], v[40:41], v[120:121] op_sel:[0,0,1] op_sel_hi:[1,0,0]
	v_pk_mul_f32 v[82:83], v[96:97], v[82:83] op_sel_hi:[1,0]
	v_mov_b32_e32 v127, v73
	v_mov_b32_e32 v95, v93
	v_pk_fma_f32 v[92:93], v[86:87], v[46:47], v[32:33] op_sel:[0,0,1] op_sel_hi:[1,1,0] neg_lo:[0,0,1] neg_hi:[0,0,1]
	v_pk_fma_f32 v[32:33], v[86:87], v[46:47], v[32:33] op_sel:[0,0,1] op_sel_hi:[1,0,0]
	v_mov_b32_e32 v99, v103
	v_pk_fma_f32 v[102:103], v[96:97], v[42:43], v[82:83] op_sel:[0,0,1] op_sel_hi:[1,1,0] neg_lo:[0,0,1] neg_hi:[0,0,1]
	v_pk_fma_f32 v[72:73], v[96:97], v[42:43], v[82:83] op_sel:[0,0,1] op_sel_hi:[1,0,0]
	v_pk_add_f32 v[82:83], v[74:75], v[122:123]
	v_mov_b32_e32 v85, v89
	v_mov_b32_e32 v93, v33
	;; [unrolled: 1-line block ×3, first 2 shown]
	v_pk_add_f32 v[32:33], v[82:83], v[126:127]
	v_pk_add_f32 v[72:73], v[126:127], v[124:125]
	v_pk_add_f32 v[86:87], v[122:123], v[84:85] neg_lo:[0,1] neg_hi:[0,1]
	v_pk_add_f32 v[88:89], v[122:123], v[126:127] neg_lo:[0,1] neg_hi:[0,1]
	;; [unrolled: 1-line block ×3, first 2 shown]
	v_pk_add_f32 v[120:121], v[122:123], v[84:85]
	v_pk_add_f32 v[32:33], v[32:33], v[124:125]
	v_pk_fma_f32 v[128:129], v[72:73], 0.5, v[74:75] op_sel_hi:[1,0,1] neg_lo:[1,0,0] neg_hi:[1,0,0]
	v_pk_add_f32 v[82:83], v[126:127], v[124:125] neg_lo:[0,1] neg_hi:[0,1]
	v_pk_add_f32 v[88:89], v[88:89], v[96:97]
	v_pk_fma_f32 v[74:75], v[120:121], 0.5, v[74:75] op_sel_hi:[1,0,1] neg_lo:[1,0,0] neg_hi:[1,0,0]
	v_pk_add_f32 v[72:73], v[32:33], v[84:85]
	v_pk_fma_f32 v[32:33], v[86:87], s[0:1], v[128:129] op_sel:[1,0,0] op_sel_hi:[0,0,1]
	v_pk_fma_f32 v[96:97], v[86:87], s[0:1], v[128:129] op_sel:[1,0,0] op_sel_hi:[0,0,1] neg_lo:[1,0,0] neg_hi:[1,0,0]
	v_pk_fma_f32 v[120:121], v[82:83], s[0:1], v[74:75] op_sel:[1,0,0] op_sel_hi:[0,0,1] neg_lo:[1,0,0] neg_hi:[1,0,0]
	v_pk_fma_f32 v[74:75], v[82:83], s[0:1], v[74:75] op_sel:[1,0,0] op_sel_hi:[0,0,1]
	v_pk_fma_f32 v[96:97], v[82:83], s[18:19], v[96:97] op_sel:[1,0,0] op_sel_hi:[0,0,1] neg_lo:[1,0,0] neg_hi:[1,0,0]
	v_pk_fma_f32 v[32:33], v[82:83], s[18:19], v[32:33] op_sel:[1,0,0] op_sel_hi:[0,0,1]
	v_pk_fma_f32 v[128:129], v[86:87], s[18:19], v[74:75] op_sel:[1,0,0] op_sel_hi:[0,0,1] neg_lo:[1,0,0] neg_hi:[1,0,0]
	v_mov_b32_e32 v74, v32
	v_mov_b32_e32 v75, v97
	;; [unrolled: 1-line block ×3, first 2 shown]
	v_pk_fma_f32 v[32:33], v[86:87], s[18:19], v[120:121] op_sel:[1,0,0] op_sel_hi:[0,0,1]
	v_mov_b32_e32 v86, v32
	v_mov_b32_e32 v87, v129
	;; [unrolled: 1-line block ×3, first 2 shown]
	v_pk_add_f32 v[32:33], v[76:77], v[94:95]
	v_pk_fma_f32 v[74:75], v[88:89], s[20:21], v[74:75] op_sel_hi:[1,0,1]
	v_pk_fma_f32 v[82:83], v[88:89], s[20:21], v[96:97] op_sel_hi:[1,0,1]
	v_pk_add_f32 v[88:89], v[126:127], v[122:123] neg_lo:[0,1] neg_hi:[0,1]
	v_pk_add_f32 v[84:85], v[124:125], v[84:85] neg_lo:[0,1] neg_hi:[0,1]
	v_pk_add_f32 v[32:33], v[32:33], v[92:93]
	s_waitcnt vmcnt(0)
	v_pk_mul_f32 v[120:121], v[100:101], v[68:69] op_sel:[0,1]
	v_pk_add_f32 v[84:85], v[88:89], v[84:85]
	v_pk_add_f32 v[32:33], v[32:33], v[98:99]
	v_pk_fma_f32 v[122:123], v[100:101], v[68:69], v[120:121] op_sel:[0,0,1] op_sel_hi:[1,1,0] neg_lo:[0,0,1] neg_hi:[0,0,1]
	v_pk_fma_f32 v[100:101], v[100:101], v[68:69], v[120:121] op_sel:[0,0,1] op_sel_hi:[1,0,0]
	v_pk_fma_f32 v[86:87], v[84:85], s[20:21], v[86:87] op_sel_hi:[1,0,1]
	v_pk_fma_f32 v[88:89], v[84:85], s[20:21], v[128:129] op_sel_hi:[1,0,1]
	v_pk_add_f32 v[84:85], v[32:33], v[102:103]
	v_pk_add_f32 v[32:33], v[94:95], v[92:93] neg_lo:[0,1] neg_hi:[0,1]
	v_pk_add_f32 v[96:97], v[102:103], v[98:99] neg_lo:[0,1] neg_hi:[0,1]
	v_mov_b32_e32 v100, v71
	v_pk_add_f32 v[32:33], v[32:33], v[96:97]
	ds_read_b64 v[96:97], v109 offset:11424
	v_mov_b32_e32 v123, v101
	v_pk_mul_f32 v[100:101], v[90:91], v[100:101] op_sel_hi:[1,0]
	v_pk_add_f32 v[128:129], v[92:93], v[98:99] neg_lo:[0,1] neg_hi:[0,1]
	v_pk_fma_f32 v[120:121], v[90:91], v[70:71], v[100:101] op_sel:[0,0,1] op_sel_hi:[1,1,0] neg_lo:[0,0,1] neg_hi:[0,0,1]
	v_pk_fma_f32 v[90:91], v[90:91], v[70:71], v[100:101] op_sel:[0,0,1] op_sel_hi:[1,0,0]
	v_pk_mul_f32 v[130:131], v[128:129], s[18:19] op_sel_hi:[1,0]
	v_mov_b32_e32 v121, v91
	v_pk_mul_f32 v[90:91], v[104:105], v[64:65] op_sel:[0,1]
	s_nop 0
	v_pk_fma_f32 v[124:125], v[104:105], v[64:65], v[90:91] op_sel:[0,0,1] op_sel_hi:[1,1,0] neg_lo:[0,0,1] neg_hi:[0,0,1]
	v_pk_fma_f32 v[90:91], v[104:105], v[64:65], v[90:91] op_sel:[0,0,1] op_sel_hi:[1,0,0]
	s_nop 0
	v_mov_b32_e32 v90, v67
	v_mov_b32_e32 v125, v91
	s_waitcnt lgkmcnt(0)
	v_pk_mul_f32 v[90:91], v[96:97], v[90:91] op_sel_hi:[1,0]
	s_nop 0
	v_pk_fma_f32 v[104:105], v[96:97], v[66:67], v[90:91] op_sel:[0,0,1] op_sel_hi:[1,1,0] neg_lo:[0,0,1] neg_hi:[0,0,1]
	v_pk_fma_f32 v[90:91], v[96:97], v[66:67], v[90:91] op_sel:[0,0,1] op_sel_hi:[1,0,0]
	v_pk_add_f32 v[96:97], v[94:95], v[102:103] neg_lo:[0,1] neg_hi:[0,1]
	v_mov_b32_e32 v105, v91
	v_pk_add_f32 v[90:91], v[92:93], v[98:99]
	v_pk_mul_f32 v[100:101], v[96:97], s[0:1] op_sel_hi:[1,0]
	v_pk_fma_f32 v[90:91], v[90:91], 0.5, v[76:77] op_sel_hi:[1,0,1] neg_lo:[1,0,0] neg_hi:[1,0,0]
	v_pk_add_f32 v[92:93], v[92:93], v[94:95] neg_lo:[0,1] neg_hi:[0,1]
	v_pk_add_f32 v[126:127], v[90:91], v[100:101] op_sel:[0,1] op_sel_hi:[1,0] neg_lo:[0,1] neg_hi:[0,1]
	v_pk_add_f32 v[90:91], v[90:91], v[100:101] op_sel:[0,1] op_sel_hi:[1,0]
	v_pk_add_f32 v[126:127], v[126:127], v[130:131] op_sel:[0,1] op_sel_hi:[1,0] neg_lo:[0,1] neg_hi:[0,1]
	v_pk_add_f32 v[100:101], v[130:131], v[90:91] op_sel:[1,0] op_sel_hi:[0,1]
	v_pk_add_f32 v[130:131], v[94:95], v[102:103]
	v_pk_add_f32 v[94:95], v[98:99], v[102:103] neg_lo:[0,1] neg_hi:[0,1]
	v_pk_fma_f32 v[76:77], v[130:131], 0.5, v[76:77] op_sel_hi:[1,0,1] neg_lo:[1,0,0] neg_hi:[1,0,0]
	v_pk_add_f32 v[94:95], v[92:93], v[94:95]
	v_pk_mul_f32 v[92:93], v[128:129], s[0:1] op_sel_hi:[1,0]
	v_mov_b32_e32 v90, v100
	v_mov_b32_e32 v91, v127
	v_pk_add_f32 v[98:99], v[92:93], v[76:77] op_sel:[1,0] op_sel_hi:[0,1]
	v_pk_mul_f32 v[96:97], v[96:97], s[18:19] op_sel_hi:[1,0]
	v_pk_add_f32 v[76:77], v[76:77], v[92:93] op_sel:[0,1] op_sel_hi:[1,0] neg_lo:[0,1] neg_hi:[0,1]
	v_mov_b32_e32 v127, v101
	v_pk_add_f32 v[98:99], v[98:99], v[96:97] op_sel:[0,1] op_sel_hi:[1,0] neg_lo:[0,1] neg_hi:[0,1]
	v_pk_add_f32 v[76:77], v[96:97], v[76:77] op_sel:[1,0] op_sel_hi:[0,1]
	v_pk_fma_f32 v[90:91], v[32:33], s[20:21], v[90:91] op_sel_hi:[1,0,1]
	v_pk_fma_f32 v[96:97], v[32:33], s[20:21], v[126:127] op_sel_hi:[1,0,1]
	v_pk_add_f32 v[32:33], v[80:81], v[122:123]
	v_mov_b32_e32 v92, v76
	v_pk_add_f32 v[32:33], v[32:33], v[120:121]
	v_mov_b32_e32 v93, v99
	v_mov_b32_e32 v99, v77
	v_pk_add_f32 v[32:33], v[32:33], v[124:125]
	v_pk_fma_f32 v[92:93], v[94:95], s[20:21], v[92:93] op_sel_hi:[1,0,1]
	v_pk_fma_f32 v[94:95], v[94:95], s[20:21], v[98:99] op_sel_hi:[1,0,1]
	v_pk_add_f32 v[98:99], v[32:33], v[104:105]
	v_pk_add_f32 v[32:33], v[120:121], v[124:125]
	v_pk_add_f32 v[102:103], v[122:123], v[104:105] neg_lo:[0,1] neg_hi:[0,1]
	v_pk_fma_f32 v[32:33], v[32:33], 0.5, v[80:81] op_sel_hi:[1,0,1] neg_lo:[1,0,0] neg_hi:[1,0,0]
	v_pk_add_f32 v[126:127], v[120:121], v[124:125] neg_lo:[0,1] neg_hi:[0,1]
	v_pk_fma_f32 v[76:77], v[102:103], s[0:1], v[32:33] op_sel:[1,0,0] op_sel_hi:[0,0,1]
	v_pk_fma_f32 v[32:33], v[102:103], s[0:1], v[32:33] op_sel:[1,0,0] op_sel_hi:[0,0,1] neg_lo:[1,0,0] neg_hi:[1,0,0]
	v_pk_fma_f32 v[32:33], v[126:127], s[18:19], v[32:33] op_sel:[1,0,0] op_sel_hi:[0,0,1] neg_lo:[1,0,0] neg_hi:[1,0,0]
	v_pk_fma_f32 v[76:77], v[126:127], s[18:19], v[76:77] op_sel:[1,0,0] op_sel_hi:[0,0,1]
	v_pk_add_f32 v[128:129], v[122:123], v[120:121] neg_lo:[0,1] neg_hi:[0,1]
	v_pk_add_f32 v[130:131], v[104:105], v[124:125] neg_lo:[0,1] neg_hi:[0,1]
	v_mov_b32_e32 v101, v33
	v_pk_add_f32 v[128:129], v[128:129], v[130:131]
	v_mov_b32_e32 v33, v77
	v_mov_b32_e32 v100, v76
	v_pk_fma_f32 v[76:77], v[128:129], s[20:21], v[32:33] op_sel_hi:[1,0,1]
	v_pk_add_f32 v[32:33], v[122:123], v[104:105]
	v_pk_add_f32 v[120:121], v[120:121], v[122:123] neg_lo:[0,1] neg_hi:[0,1]
	v_pk_fma_f32 v[32:33], v[32:33], 0.5, v[80:81] op_sel_hi:[1,0,1] neg_lo:[1,0,0] neg_hi:[1,0,0]
	v_pk_add_f32 v[104:105], v[124:125], v[104:105] neg_lo:[0,1] neg_hi:[0,1]
	v_pk_fma_f32 v[80:81], v[126:127], s[0:1], v[32:33] op_sel:[1,0,0] op_sel_hi:[0,0,1] neg_lo:[1,0,0] neg_hi:[1,0,0]
	v_pk_fma_f32 v[32:33], v[126:127], s[0:1], v[32:33] op_sel:[1,0,0] op_sel_hi:[0,0,1]
	v_pk_fma_f32 v[32:33], v[102:103], s[18:19], v[32:33] op_sel:[1,0,0] op_sel_hi:[0,0,1] neg_lo:[1,0,0] neg_hi:[1,0,0]
	v_pk_fma_f32 v[80:81], v[102:103], s[18:19], v[80:81] op_sel:[1,0,0] op_sel_hi:[0,0,1]
	v_mov_b32_e32 v102, v80
	v_mov_b32_e32 v103, v33
	v_pk_add_f32 v[104:105], v[120:121], v[104:105]
	v_mov_b32_e32 v33, v81
	v_pk_fma_f32 v[100:101], v[128:129], s[20:21], v[100:101] op_sel_hi:[1,0,1]
	v_pk_fma_f32 v[102:103], v[104:105], s[20:21], v[102:103] op_sel_hi:[1,0,1]
	;; [unrolled: 1-line block ×3, first 2 shown]
	ds_write2_b64 v109, v[72:73], v[84:85] offset1:102
	ds_write2_b64 v1, v[86:87], v[92:93] offset0:100 offset1:202
	ds_write2_b64 v3, v[82:83], v[96:97] offset0:72 offset1:174
	;; [unrolled: 1-line block ×6, first 2 shown]
	ds_write_b64 v109, v[76:77] offset:11424
	s_waitcnt lgkmcnt(0)
	s_barrier
	s_and_saveexec_b64 s[0:1], s[6:7]
	s_cbranch_execz .LBB0_15
; %bb.14:
	v_mov_b32_e32 v107, 0
	v_lshl_add_u64 v[32:33], s[12:13], 0, v[106:107]
	v_add_co_u32_e32 v120, vcc, 0x2000, v32
	ds_read_b64 v[80:81], v109
	s_nop 0
	v_addc_co_u32_e32 v121, vcc, 0, v33, vcc
	global_load_dwordx2 v[120:121], v[120:121], off offset:4048
	s_mov_b64 s[14:15], 0x2fd0
	v_lshl_add_u64 v[124:125], v[32:33], 0, s[14:15]
	s_movk_i32 s14, 0x4000
	s_waitcnt vmcnt(0) lgkmcnt(0)
	v_mul_f32_e32 v0, v81, v121
	v_mul_f32_e32 v123, v80, v121
	v_fma_f32 v122, v80, v120, -v0
	v_fmac_f32_e32 v123, v81, v120
	global_load_dwordx2 v[80:81], v[124:125], off offset:720
	ds_write_b64 v109, v[122:123]
	ds_read2_b64 v[120:123], v106 offset0:90 offset1:180
	s_waitcnt vmcnt(0) lgkmcnt(0)
	v_mul_f32_e32 v0, v121, v81
	v_mul_f32_e32 v127, v120, v81
	v_fma_f32 v126, v120, v80, -v0
	v_fmac_f32_e32 v127, v121, v80
	global_load_dwordx2 v[80:81], v[124:125], off offset:1440
	s_waitcnt vmcnt(0)
	v_mul_f32_e32 v0, v123, v81
	v_mul_f32_e32 v121, v122, v81
	v_fma_f32 v120, v122, v80, -v0
	v_fmac_f32_e32 v121, v123, v80
	global_load_dwordx2 v[80:81], v[124:125], off offset:2160
	v_add_u32_e32 v0, 0x800, v106
	ds_write2_b64 v106, v[126:127], v[120:121] offset0:90 offset1:180
	ds_read2_b64 v[120:123], v0 offset0:14 offset1:104
	s_waitcnt vmcnt(0) lgkmcnt(0)
	v_mul_f32_e32 v1, v121, v81
	v_mul_f32_e32 v127, v120, v81
	v_fma_f32 v126, v120, v80, -v1
	v_fmac_f32_e32 v127, v121, v80
	global_load_dwordx2 v[80:81], v[124:125], off offset:2880
	s_waitcnt vmcnt(0)
	v_mul_f32_e32 v1, v123, v81
	v_mul_f32_e32 v121, v122, v81
	v_fma_f32 v120, v122, v80, -v1
	v_fmac_f32_e32 v121, v123, v80
	global_load_dwordx2 v[80:81], v[124:125], off offset:3600
	ds_write2_b64 v0, v[126:127], v[120:121] offset0:14 offset1:104
	v_add_u32_e32 v0, 0xc00, v106
	ds_read2_b64 v[120:123], v0 offset0:66 offset1:156
	s_waitcnt vmcnt(0) lgkmcnt(0)
	v_mul_f32_e32 v1, v121, v81
	v_mul_f32_e32 v125, v120, v81
	v_fma_f32 v124, v120, v80, -v1
	v_fmac_f32_e32 v125, v121, v80
	v_add_co_u32_e32 v80, vcc, s14, v32
	s_movk_i32 s14, 0x5000
	s_nop 0
	v_addc_co_u32_e32 v81, vcc, 0, v33, vcc
	global_load_dwordx2 v[120:121], v[80:81], off offset:176
	v_add_co_u32_e32 v32, vcc, s14, v32
	s_waitcnt vmcnt(0)
	v_mul_f32_e32 v1, v123, v121
	v_mul_f32_e32 v127, v122, v121
	v_fma_f32 v126, v122, v120, -v1
	v_fmac_f32_e32 v127, v123, v120
	ds_write2_b64 v0, v[124:125], v[126:127] offset0:66 offset1:156
	global_load_dwordx2 v[124:125], v[80:81], off offset:896
	v_add_u32_e32 v0, 0x1000, v106
	ds_read2_b64 v[120:123], v0 offset0:118 offset1:208
	v_addc_co_u32_e32 v33, vcc, 0, v33, vcc
	s_waitcnt vmcnt(0) lgkmcnt(0)
	v_mul_f32_e32 v1, v121, v125
	v_mul_f32_e32 v127, v120, v125
	v_fma_f32 v126, v120, v124, -v1
	v_fmac_f32_e32 v127, v121, v124
	global_load_dwordx2 v[120:121], v[80:81], off offset:1616
	s_waitcnt vmcnt(0)
	v_mul_f32_e32 v1, v123, v121
	v_mul_f32_e32 v125, v122, v121
	v_fma_f32 v124, v122, v120, -v1
	v_fmac_f32_e32 v125, v123, v120
	ds_write2_b64 v0, v[126:127], v[124:125] offset0:118 offset1:208
	global_load_dwordx2 v[124:125], v[80:81], off offset:2336
	v_add_u32_e32 v0, 0x1800, v106
	ds_read2_b64 v[120:123], v0 offset0:42 offset1:132
	s_waitcnt vmcnt(0) lgkmcnt(0)
	v_mul_f32_e32 v1, v121, v125
	v_mul_f32_e32 v127, v120, v125
	v_fma_f32 v126, v120, v124, -v1
	v_fmac_f32_e32 v127, v121, v124
	global_load_dwordx2 v[120:121], v[80:81], off offset:3056
	s_waitcnt vmcnt(0)
	v_mul_f32_e32 v1, v123, v121
	global_load_dwordx2 v[80:81], v[80:81], off offset:3776
	v_mul_f32_e32 v125, v122, v121
	v_fma_f32 v124, v122, v120, -v1
	v_fmac_f32_e32 v125, v123, v120
	ds_write2_b64 v0, v[126:127], v[124:125] offset0:42 offset1:132
	v_add_u32_e32 v0, 0x1c00, v106
	ds_read2_b64 v[120:123], v0 offset0:94 offset1:184
	s_waitcnt vmcnt(0) lgkmcnt(0)
	v_mul_f32_e32 v1, v121, v81
	v_mul_f32_e32 v125, v120, v81
	v_fma_f32 v124, v120, v80, -v1
	v_fmac_f32_e32 v125, v121, v80
	global_load_dwordx2 v[80:81], v[32:33], off offset:400
	s_waitcnt vmcnt(0)
	v_mul_f32_e32 v1, v123, v81
	v_mul_f32_e32 v121, v122, v81
	v_fma_f32 v120, v122, v80, -v1
	v_fmac_f32_e32 v121, v123, v80
	global_load_dwordx2 v[80:81], v[32:33], off offset:1120
	ds_write2_b64 v0, v[124:125], v[120:121] offset0:94 offset1:184
	v_add_u32_e32 v0, 0x2000, v106
	ds_read2_b64 v[120:123], v0 offset0:146 offset1:236
	s_waitcnt vmcnt(0) lgkmcnt(0)
	v_mul_f32_e32 v1, v121, v81
	v_mul_f32_e32 v125, v120, v81
	v_fma_f32 v124, v120, v80, -v1
	v_fmac_f32_e32 v125, v121, v80
	global_load_dwordx2 v[80:81], v[32:33], off offset:1840
	s_waitcnt vmcnt(0)
	v_mul_f32_e32 v1, v123, v81
	v_mul_f32_e32 v121, v122, v81
	v_fma_f32 v120, v122, v80, -v1
	v_fmac_f32_e32 v121, v123, v80
	global_load_dwordx2 v[80:81], v[32:33], off offset:2560
	ds_write2_b64 v0, v[124:125], v[120:121] offset0:146 offset1:236
	global_load_dwordx2 v[32:33], v[32:33], off offset:3280
	v_add_u32_e32 v0, 0x2800, v106
	ds_read2_b64 v[120:123], v0 offset0:70 offset1:160
	s_waitcnt vmcnt(1) lgkmcnt(0)
	v_mul_f32_e32 v1, v121, v81
	v_fma_f32 v124, v120, v80, -v1
	v_mul_f32_e32 v125, v120, v81
	s_waitcnt vmcnt(0)
	v_mul_f32_e32 v1, v123, v33
	v_mul_f32_e32 v81, v122, v33
	v_fmac_f32_e32 v125, v121, v80
	v_fma_f32 v80, v122, v32, -v1
	v_fmac_f32_e32 v81, v123, v32
	ds_write2_b64 v0, v[124:125], v[80:81] offset0:70 offset1:160
.LBB0_15:
	s_or_b64 exec, exec, s[0:1]
	s_waitcnt lgkmcnt(0)
	s_barrier
	s_and_saveexec_b64 s[0:1], s[6:7]
	s_cbranch_execz .LBB0_17
; %bb.16:
	v_add_u32_e32 v0, 0x400, v109
	ds_read2_b64 v[86:89], v0 offset0:52 offset1:142
	v_add_u32_e32 v0, 0x800, v109
	ds_read2_b64 v[82:85], v0 offset0:104 offset1:194
	;; [unrolled: 2-line block ×6, first 2 shown]
	v_add_u32_e32 v0, 0x2400, v109
	ds_read2_b64 v[72:75], v109 offset1:90
	ds_read2_b64 v[76:79], v0 offset0:108 offset1:198
	ds_read_b64 v[6:7], v109 offset:11520
.LBB0_17:
	s_or_b64 exec, exec, s[0:1]
	s_waitcnt lgkmcnt(1)
	v_pk_add_f32 v[32:33], v[86:87], v[78:79] neg_lo:[0,1] neg_hi:[0,1]
	v_pk_add_f32 v[166:167], v[86:87], v[78:79]
	v_mov_b32_e32 v135, v32
	v_mov_b32_e32 v134, v166
	v_mov_b32_e32 v166, v33
	v_pk_add_f32 v[32:33], v[88:89], v[76:77] neg_lo:[0,1] neg_hi:[0,1]
	v_pk_add_f32 v[164:165], v[88:89], v[76:77]
	v_mov_b32_e32 v137, v32
	v_mov_b32_e32 v136, v164
	v_mov_b32_e32 v164, v33
	;; [unrolled: 5-line block ×5, first 2 shown]
	v_pk_add_f32 v[32:33], v[92:93], v[98:99] neg_lo:[0,1] neg_hi:[0,1]
	v_pk_add_f32 v[156:157], v[92:93], v[98:99]
	s_waitcnt lgkmcnt(0)
	v_pk_add_f32 v[168:169], v[6:7], v[74:75]
	v_pk_add_f32 v[126:127], v[74:75], v[6:7] neg_lo:[0,1] neg_hi:[0,1]
	v_mov_b32_e32 v144, v156
	v_mov_b32_e32 v145, v32
	;; [unrolled: 1-line block ×3, first 2 shown]
	v_pk_add_f32 v[32:33], v[94:95], v[96:97] neg_lo:[0,1] neg_hi:[0,1]
	v_pk_add_f32 v[154:155], v[94:95], v[96:97]
	s_mov_b32 s44, 0xbeb8f4ab
	v_mov_b32_e32 v146, v154
	v_mov_b32_e32 v147, v32
	;; [unrolled: 1-line block ×5, first 2 shown]
	s_mov_b32 s45, 0x3f6eb680
	s_mov_b32 s58, 0xbf2c7751
	v_pk_mul_f32 v[172:173], v[32:33], s[44:45]
	v_mov_b32_e32 v188, v168
	v_mov_b32_e32 v189, v126
	s_mov_b32 s0, s45
	s_mov_b32 s1, s44
	s_mov_b32 s59, 0x3f3d2fb0
	v_pk_fma_f32 v[80:81], v[188:189], s[0:1], v[172:173] neg_lo:[0,0,1] neg_hi:[0,0,1]
	v_pk_fma_f32 v[174:175], v[188:189], s[0:1], v[172:173]
	v_pk_mul_f32 v[176:177], v[166:167], s[58:59]
	s_mov_b32 s24, s59
	s_mov_b32 s25, s58
	;; [unrolled: 1-line block ×3, first 2 shown]
	v_mov_b32_e32 v81, v175
	v_pk_fma_f32 v[148:149], v[134:135], s[24:25], v[176:177] neg_lo:[0,0,1] neg_hi:[0,0,1]
	v_pk_fma_f32 v[178:179], v[134:135], s[24:25], v[176:177]
	s_mov_b32 s65, 0x3ee437d1
	v_pk_add_f32 v[80:81], v[72:73], v[80:81]
	v_mov_b32_e32 v149, v179
	v_pk_mul_f32 v[180:181], v[164:165], s[64:65]
	s_mov_b32 s18, s65
	s_mov_b32 s19, s64
	s_mov_b32 s52, 0xbf7ee86f
	v_pk_add_f32 v[80:81], v[148:149], v[80:81]
	v_pk_fma_f32 v[148:149], v[136:137], s[18:19], v[180:181] neg_lo:[0,0,1] neg_hi:[0,0,1]
	v_pk_fma_f32 v[182:183], v[136:137], s[18:19], v[180:181]
	s_mov_b32 s53, 0x3dbcf732
	v_mov_b32_e32 v149, v183
	v_pk_mul_f32 v[184:185], v[162:163], s[52:53]
	s_mov_b32 s14, s53
	s_mov_b32 s15, s52
	s_mov_b32 s42, 0xbf763a35
	v_pk_add_f32 v[80:81], v[148:149], v[80:81]
	v_pk_fma_f32 v[148:149], v[138:139], s[14:15], v[184:185] neg_lo:[0,0,1] neg_hi:[0,0,1]
	v_pk_fma_f32 v[186:187], v[138:139], s[14:15], v[184:185]
	s_mov_b32 s43, 0xbe8c1d8e
	;; [unrolled: 9-line block ×4, first 2 shown]
	v_mov_b32_e32 v149, v197
	v_pk_mul_f32 v[198:199], v[156:157], s[48:49]
	s_mov_b32 s20, s49
	s_mov_b32 s21, s48
	v_pk_add_f32 v[80:81], v[148:149], v[80:81]
	v_pk_fma_f32 v[148:149], v[144:145], s[20:21], v[198:199] neg_lo:[0,0,1] neg_hi:[0,0,1]
	v_pk_fma_f32 v[200:201], v[144:145], s[20:21], v[198:199]
	v_pk_mul_f32 v[204:205], v[32:33], s[58:59]
	v_mov_b32_e32 v149, v201
	v_pk_fma_f32 v[32:33], v[188:189], s[24:25], v[204:205] neg_lo:[0,0,1] neg_hi:[0,0,1]
	v_pk_fma_f32 v[202:203], v[188:189], s[24:25], v[204:205]
	v_pk_mul_f32 v[208:209], v[166:167], s[52:53]
	v_pk_add_f32 v[80:81], v[148:149], v[80:81]
	v_mov_b32_e32 v33, v203
	v_pk_fma_f32 v[148:149], v[134:135], s[14:15], v[208:209] neg_lo:[0,0,1] neg_hi:[0,0,1]
	v_pk_fma_f32 v[206:207], v[134:135], s[14:15], v[208:209]
	s_mov_b32 s56, 0xbe3c28d5
	v_pk_add_f32 v[32:33], v[72:73], v[32:33]
	v_mov_b32_e32 v149, v207
	v_pk_mul_f32 v[212:213], v[164:165], s[46:47]
	s_mov_b32 s57, 0xbf7ba420
	v_pk_add_f32 v[32:33], v[148:149], v[32:33]
	v_pk_fma_f32 v[148:149], v[136:137], s[22:23], v[212:213] neg_lo:[0,0,1] neg_hi:[0,0,1]
	v_pk_fma_f32 v[210:211], v[136:137], s[22:23], v[212:213]
	s_mov_b32 s26, s57
	s_mov_b32 s27, s56
	v_mov_b32_e32 v149, v211
	v_pk_mul_f32 v[216:217], v[162:163], s[56:57]
	v_pk_add_f32 v[32:33], v[148:149], v[32:33]
	v_pk_fma_f32 v[148:149], v[138:139], s[26:27], v[216:217] neg_lo:[0,0,1] neg_hi:[0,0,1]
	v_pk_fma_f32 v[214:215], v[138:139], s[26:27], v[216:217]
	s_mov_b32 s70, 0x3f06c442
	s_mov_b32 s71, s49
	v_mov_b32_e32 v149, v215
	v_pk_mul_f32 v[218:219], v[160:161], s[70:71]
	s_mov_b32 s36, s49
	s_mov_b32 s37, s70
	v_pk_add_f32 v[32:33], v[148:149], v[32:33]
	v_pk_fma_f32 v[148:149], v[140:141], s[36:37], v[218:219] neg_lo:[0,0,1] neg_hi:[0,0,1]
	v_pk_fma_f32 v[220:221], v[140:141], s[36:37], v[218:219]
	s_mov_b32 s68, 0x3f763a35
	s_mov_b32 s69, s43
	v_mov_b32_e32 v149, v221
	v_pk_mul_f32 v[222:223], v[158:159], s[68:69]
	s_mov_b32 s28, s43
	s_mov_b32 s29, s68
	;; [unrolled: 9-line block ×3, first 2 shown]
	v_pk_add_f32 v[32:33], v[148:149], v[32:33]
	v_pk_fma_f32 v[148:149], v[144:145], s[40:41], v[226:227] neg_lo:[0,0,1] neg_hi:[0,0,1]
	v_pk_fma_f32 v[228:229], v[144:145], s[40:41], v[226:227]
	v_pk_mul_f32 v[236:237], v[154:155], s[56:57]
	v_mov_b32_e32 v149, v229
	v_pk_add_f32 v[246:247], v[148:149], v[32:33]
	v_pk_fma_f32 v[32:33], v[146:147], s[26:27], v[236:237] neg_lo:[0,0,1] neg_hi:[0,0,1]
	v_pk_fma_f32 v[234:235], v[146:147], s[26:27], v[236:237]
	s_mov_b32 s62, 0x3eb8f4ab
	s_mov_b32 s63, s45
	v_mov_b32_e32 v33, v235
	s_mov_b32 s38, s45
	s_mov_b32 s39, s62
	v_pk_mul_f32 v[232:233], v[154:155], s[62:63]
	v_pk_add_f32 v[242:243], v[32:33], v[80:81]
	v_pk_fma_f32 v[80:81], v[146:147], s[38:39], v[232:233] neg_lo:[0,0,1] neg_hi:[0,0,1]
	v_pk_fma_f32 v[230:231], v[146:147], s[38:39], v[232:233]
	v_mov_b32_e32 v132, v24
	v_mov_b32_e32 v81, v231
	v_pk_add_f32 v[2:3], v[80:81], v[246:247]
	v_mov_b32_e32 v133, v24
	v_accvgpr_write_b32 a25, v3
	v_mov_b32_e32 v24, v25
	v_mov_b32_e32 v130, v26
	;; [unrolled: 1-line block ×28, first 2 shown]
	v_accvgpr_write_b32 a24, v2
	s_barrier
	s_and_saveexec_b64 s[30:31], s[6:7]
	s_cbranch_execz .LBB0_19
; %bb.18:
	v_pk_add_f32 v[2:3], v[74:75], v[72:73]
	v_pk_mul_f32 v[246:247], v[188:189], s[0:1]
	v_pk_add_f32 v[2:3], v[86:87], v[2:3]
	v_accvgpr_write_b32 a16, v248
	v_pk_add_f32 v[2:3], v[88:89], v[2:3]
	v_accvgpr_write_b32 a17, v249
	v_pk_add_f32 v[2:3], v[82:83], v[2:3]
	v_pk_mul_f32 v[248:249], v[134:135], s[24:25]
	v_pk_add_f32 v[2:3], v[84:85], v[2:3]
	v_accvgpr_write_b32 a26, v120
	v_pk_add_f32 v[2:3], v[90:91], v[2:3]
	v_pk_add_f32 v[74:75], v[172:173], v[246:247] neg_lo:[0,1] neg_hi:[0,1]
	v_pk_add_f32 v[2:3], v[92:93], v[2:3]
	v_accvgpr_write_b32 a27, v121
	v_pk_add_f32 v[2:3], v[94:95], v[2:3]
	v_mov_b32_e32 v120, v250
	v_pk_add_f32 v[2:3], v[96:97], v[2:3]
	v_accvgpr_write_b32 a18, v251
	v_pk_add_f32 v[2:3], v[98:99], v[2:3]
	v_pk_mul_f32 v[250:251], v[136:137], s[18:19]
	v_pk_add_f32 v[2:3], v[100:101], v[2:3]
	v_accvgpr_write_b32 a20, v252
	v_pk_add_f32 v[2:3], v[102:103], v[2:3]
	v_mov_b32_e32 v175, v75
	v_pk_add_f32 v[2:3], v[104:105], v[2:3]
	v_accvgpr_write_b32 a21, v253
	v_pk_add_f32 v[2:3], v[76:77], v[2:3]
	v_pk_add_f32 v[76:77], v[176:177], v[248:249] neg_lo:[0,1] neg_hi:[0,1]
	v_pk_mul_f32 v[252:253], v[138:139], s[14:15]
	v_accvgpr_write_b32 a22, v254
	v_pk_add_f32 v[74:75], v[72:73], v[174:175]
	v_mov_b32_e32 v179, v77
	v_pk_add_f32 v[76:77], v[180:181], v[250:251] neg_lo:[0,1] neg_hi:[0,1]
	v_accvgpr_write_b32 a23, v255
	v_pk_mul_f32 v[254:255], v[140:141], s[34:35]
	v_accvgpr_write_b32 a8, v238
	v_pk_add_f32 v[74:75], v[178:179], v[74:75]
	v_mov_b32_e32 v183, v77
	v_pk_add_f32 v[76:77], v[184:185], v[252:253] neg_lo:[0,1] neg_hi:[0,1]
	v_accvgpr_write_b32 a9, v239
	v_accvgpr_write_b32 a10, v240
	;; [unrolled: 1-line block ×3, first 2 shown]
	v_pk_mul_f32 v[238:239], v[142:143], s[22:23]
	v_pk_mul_f32 v[32:33], v[140:141], s[36:37]
	v_accvgpr_write_b32 a32, v34
	v_pk_add_f32 v[74:75], v[182:183], v[74:75]
	v_mov_b32_e32 v187, v77
	v_pk_add_f32 v[76:77], v[190:191], v[254:255] neg_lo:[0,1] neg_hi:[0,1]
	v_pk_mul_f32 v[240:241], v[144:145], s[20:21]
	v_accvgpr_write_b32 a33, v35
	v_pk_mul_f32 v[34:35], v[142:143], s[28:29]
	v_pk_add_f32 v[74:75], v[186:187], v[74:75]
	v_mov_b32_e32 v193, v77
	v_pk_add_f32 v[76:77], v[194:195], v[238:239] neg_lo:[0,1] neg_hi:[0,1]
	v_pk_add_f32 v[32:33], v[218:219], v[32:33] neg_lo:[0,1] neg_hi:[0,1]
	v_pk_mul_f32 v[4:5], v[144:145], s[40:41]
	v_pk_add_f32 v[74:75], v[192:193], v[74:75]
	v_mov_b32_e32 v197, v77
	v_pk_add_f32 v[76:77], v[198:199], v[240:241] neg_lo:[0,1] neg_hi:[0,1]
	v_mov_b32_e32 v221, v33
	v_pk_add_f32 v[32:33], v[222:223], v[34:35] neg_lo:[0,1] neg_hi:[0,1]
	v_pk_mul_f32 v[80:81], v[146:147], s[38:39]
	s_mov_b32 s50, s65
	v_pk_mul_f32 v[0:1], v[126:127], s[64:65] op_sel_hi:[1,0]
	v_pk_add_f32 v[74:75], v[196:197], v[74:75]
	v_mov_b32_e32 v201, v77
	v_mov_b32_e32 v225, v33
	v_pk_add_f32 v[32:33], v[226:227], v[4:5] neg_lo:[0,1] neg_hi:[0,1]
	v_pk_add_f32 v[74:75], v[200:201], v[74:75]
	v_mov_b32_e32 v229, v33
	v_pk_add_f32 v[32:33], v[232:233], v[80:81] neg_lo:[0,1] neg_hi:[0,1]
	v_pk_fma_f32 v[4:5], v[168:169], s[50:51], v[0:1] op_sel:[0,0,1] op_sel_hi:[1,0,0]
	v_pk_fma_f32 v[90:91], v[168:169], s[50:51], v[0:1] op_sel:[0,0,1] op_sel_hi:[1,0,0] neg_lo:[0,0,1] neg_hi:[0,0,1]
	v_pk_mul_f32 v[200:201], v[166:167], s[46:47]
	s_mov_b32 s51, 0x3e3c28d5
	v_accvgpr_write_b32 a12, v242
	v_mov_b32_e32 v231, v33
	v_mov_b32_e32 v0, v4
	v_accvgpr_write_b32 a19, v5
	v_mov_b32_e32 v1, v91
	v_pk_fma_f32 v[4:5], v[134:135], s[22:23], v[200:201]
	v_pk_fma_f32 v[32:33], v[134:135], s[22:23], v[200:201] neg_lo:[1,0,0] neg_hi:[1,0,0]
	s_mov_b32 s54, s51
	s_mov_b32 s55, s57
	v_accvgpr_write_b32 a13, v243
	v_accvgpr_write_b32 a14, v244
	;; [unrolled: 1-line block ×3, first 2 shown]
	v_pk_mul_f32 v[242:243], v[146:147], s[26:27]
	v_pk_add_f32 v[0:1], v[72:73], v[0:1]
	v_mov_b32_e32 v32, v4
	s_mov_b32 s50, s57
	v_pk_mul_f32 v[196:197], v[164:165], s[54:55]
	v_accvgpr_write_b32 a28, v122
	v_pk_add_f32 v[76:77], v[236:237], v[242:243] neg_lo:[0,1] neg_hi:[0,1]
	v_accvgpr_write_b32 a35, v5
	v_pk_add_f32 v[0:1], v[32:33], v[0:1]
	v_pk_fma_f32 v[4:5], v[136:137], s[50:51], v[196:197]
	v_pk_fma_f32 v[32:33], v[136:137], s[50:51], v[196:197] neg_lo:[1,0,0] neg_hi:[1,0,0]
	v_accvgpr_write_b32 a29, v123
	v_mov_b64_e32 v[122:123], v[6:7]
	v_pk_add_f32 v[2:3], v[78:79], v[2:3]
	v_mov_b32_e32 v235, v77
	v_mov_b32_e32 v32, v4
	v_pk_mul_f32 v[192:193], v[162:163], s[68:69]
	s_mov_b32 s55, 0x3f2c7751
	v_pk_mul_f32 v[188:189], v[188:189], s[24:25]
	v_lshlrev_b32_e32 v107, 3, v171
	v_pk_add_f32 v[2:3], v[122:123], v[2:3]
	v_pk_add_f32 v[74:75], v[234:235], v[74:75]
	v_accvgpr_write_b32 a37, v5
	v_pk_add_f32 v[0:1], v[32:33], v[0:1]
	v_pk_fma_f32 v[4:5], v[138:139], s[28:29], v[192:193]
	v_pk_fma_f32 v[32:33], v[138:139], s[28:29], v[192:193] neg_lo:[1,0,0] neg_hi:[1,0,0]
	s_mov_b32 s72, s55
	s_mov_b32 s73, s59
	v_pk_mul_f32 v[244:245], v[134:135], s[14:15]
	ds_write2_b64 v107, v[2:3], v[74:75] offset1:1
	v_pk_add_f32 v[2:3], v[204:205], v[188:189] neg_lo:[0,1] neg_hi:[0,1]
	v_mov_b32_e32 v32, v4
	s_mov_b32 s54, s59
	v_pk_mul_f32 v[188:189], v[160:161], s[72:73]
	v_accvgpr_write_b32 a0, v110
	v_accvgpr_write_b32 a1, v111
	v_pk_mul_f32 v[110:111], v[136:137], s[22:23]
	v_mov_b32_e32 v203, v3
	v_pk_add_f32 v[74:75], v[208:209], v[244:245] neg_lo:[0,1] neg_hi:[0,1]
	v_accvgpr_write_b32 a39, v5
	v_pk_add_f32 v[0:1], v[32:33], v[0:1]
	v_pk_fma_f32 v[4:5], v[140:141], s[54:55], v[188:189]
	v_pk_fma_f32 v[32:33], v[140:141], s[54:55], v[188:189] neg_lo:[1,0,0] neg_hi:[1,0,0]
	v_pk_mul_f32 v[6:7], v[138:139], s[26:27]
	v_pk_add_f32 v[2:3], v[72:73], v[202:203]
	v_mov_b32_e32 v207, v75
	v_pk_add_f32 v[74:75], v[212:213], v[110:111] neg_lo:[0,1] neg_hi:[0,1]
	v_mov_b32_e32 v32, v4
	v_pk_mul_f32 v[184:185], v[158:159], s[44:45]
	v_pk_add_f32 v[2:3], v[206:207], v[2:3]
	v_mov_b32_e32 v211, v75
	v_pk_add_f32 v[74:75], v[216:217], v[6:7] neg_lo:[0,1] neg_hi:[0,1]
	v_accvgpr_write_b32 a41, v5
	v_pk_add_f32 v[0:1], v[32:33], v[0:1]
	v_pk_fma_f32 v[4:5], v[142:143], s[0:1], v[184:185]
	v_pk_fma_f32 v[32:33], v[142:143], s[0:1], v[184:185] neg_lo:[1,0,0] neg_hi:[1,0,0]
	v_pk_add_f32 v[2:3], v[210:211], v[2:3]
	v_mov_b32_e32 v215, v75
	v_mov_b32_e32 v32, v4
	v_pk_mul_f32 v[180:181], v[156:157], s[52:53]
	v_pk_add_f32 v[2:3], v[214:215], v[2:3]
	v_accvgpr_write_b32 a43, v5
	v_pk_add_f32 v[0:1], v[32:33], v[0:1]
	v_pk_fma_f32 v[4:5], v[144:145], s[14:15], v[180:181]
	v_pk_fma_f32 v[32:33], v[144:145], s[14:15], v[180:181] neg_lo:[1,0,0] neg_hi:[1,0,0]
	v_pk_add_f32 v[2:3], v[220:221], v[2:3]
	v_mov_b32_e32 v32, v4
	v_pk_mul_f32 v[176:177], v[154:155], s[48:49]
	v_pk_add_f32 v[2:3], v[224:225], v[2:3]
	v_accvgpr_write_b32 a45, v5
	v_pk_add_f32 v[0:1], v[32:33], v[0:1]
	v_pk_fma_f32 v[4:5], v[146:147], s[20:21], v[176:177]
	v_pk_fma_f32 v[32:33], v[146:147], s[20:21], v[176:177] neg_lo:[1,0,0] neg_hi:[1,0,0]
	v_pk_add_f32 v[2:3], v[228:229], v[2:3]
	v_mov_b32_e32 v32, v4
	v_pk_add_f32 v[2:3], v[230:231], v[2:3]
	v_pk_add_f32 v[0:1], v[32:33], v[0:1]
	ds_write2_b64 v107, v[2:3], v[0:1] offset0:2 offset1:3
	s_mov_b32 s66, s53
	v_pk_mul_f32 v[0:1], v[126:127], s[52:53] op_sel_hi:[1,0]
	v_pk_mul_f32 v[178:179], v[166:167], s[56:57]
	v_pk_fma_f32 v[2:3], v[168:169], s[66:67], v[0:1] op_sel:[0,0,1] op_sel_hi:[1,0,0]
	v_pk_fma_f32 v[174:175], v[168:169], s[66:67], v[0:1] op_sel:[0,0,1] op_sel_hi:[1,0,0] neg_lo:[0,0,1] neg_hi:[0,0,1]
	v_accvgpr_write_b32 a47, v5
	v_mov_b32_e32 v0, v2
	v_accvgpr_write_b32 a49, v3
	v_mov_b32_e32 v1, v175
	v_pk_fma_f32 v[4:5], v[134:135], s[26:27], v[178:179]
	v_pk_fma_f32 v[2:3], v[134:135], s[26:27], v[178:179] neg_lo:[1,0,0] neg_hi:[1,0,0]
	v_pk_add_f32 v[0:1], v[72:73], v[0:1]
	v_mov_b32_e32 v2, v4
	v_pk_mul_f32 v[182:183], v[164:165], s[68:69]
	v_accvgpr_write_b32 a51, v5
	v_pk_add_f32 v[0:1], v[2:3], v[0:1]
	v_pk_fma_f32 v[4:5], v[136:137], s[28:29], v[182:183]
	v_pk_fma_f32 v[2:3], v[136:137], s[28:29], v[182:183] neg_lo:[1,0,0] neg_hi:[1,0,0]
	v_pk_mul_f32 v[186:187], v[162:163], s[62:63]
	v_mov_b32_e32 v2, v4
	v_accvgpr_write_b32 a53, v5
	v_pk_add_f32 v[0:1], v[2:3], v[0:1]
	v_pk_fma_f32 v[4:5], v[138:139], s[38:39], v[186:187]
	v_pk_fma_f32 v[2:3], v[138:139], s[38:39], v[186:187] neg_lo:[1,0,0] neg_hi:[1,0,0]
	v_pk_mul_f32 v[190:191], v[160:161], s[64:65]
	v_mov_b32_e32 v2, v4
	;; [unrolled: 6-line block ×3, first 2 shown]
	s_mov_b32 s67, 0x3f4c4adb
	v_accvgpr_write_b32 a57, v5
	v_pk_add_f32 v[0:1], v[2:3], v[0:1]
	v_pk_fma_f32 v[4:5], v[142:143], s[20:21], v[194:195]
	v_pk_fma_f32 v[2:3], v[142:143], s[20:21], v[194:195] neg_lo:[1,0,0] neg_hi:[1,0,0]
	s_mov_b32 s74, s67
	s_mov_b32 s75, s47
	v_mov_b32_e32 v2, v4
	s_mov_b32 s66, s47
	v_pk_mul_f32 v[198:199], v[156:157], s[74:75]
	v_accvgpr_write_b32 a59, v5
	v_pk_add_f32 v[0:1], v[2:3], v[0:1]
	v_pk_fma_f32 v[4:5], v[144:145], s[66:67], v[198:199]
	v_pk_fma_f32 v[2:3], v[144:145], s[66:67], v[198:199] neg_lo:[1,0,0] neg_hi:[1,0,0]
	v_pk_mul_f32 v[202:203], v[154:155], s[72:73]
	v_mov_b32_e32 v2, v4
	v_accvgpr_write_b32 a61, v5
	v_pk_add_f32 v[0:1], v[2:3], v[0:1]
	v_pk_fma_f32 v[4:5], v[146:147], s[54:55], v[202:203]
	v_pk_fma_f32 v[2:3], v[146:147], s[54:55], v[202:203] neg_lo:[1,0,0] neg_hi:[1,0,0]
	s_mov_b32 s76, s43
	v_mov_b32_e32 v2, v4
	v_pk_add_f32 v[0:1], v[2:3], v[0:1]
	v_pk_mul_f32 v[2:3], v[126:127], s[42:43] op_sel_hi:[1,0]
	v_pk_mul_f32 v[210:211], v[166:167], s[70:71]
	v_pk_fma_f32 v[204:205], v[168:169], s[76:77], v[2:3] op_sel:[0,0,1] op_sel_hi:[1,0,0]
	v_pk_fma_f32 v[206:207], v[168:169], s[76:77], v[2:3] op_sel:[0,0,1] op_sel_hi:[1,0,0] neg_lo:[0,0,1] neg_hi:[0,0,1]
	v_mov_b32_e32 v2, v204
	v_mov_b32_e32 v3, v207
	v_pk_fma_f32 v[208:209], v[134:135], s[36:37], v[210:211]
	v_pk_fma_f32 v[32:33], v[134:135], s[36:37], v[210:211] neg_lo:[1,0,0] neg_hi:[1,0,0]
	v_pk_add_f32 v[2:3], v[72:73], v[2:3]
	v_mov_b32_e32 v32, v208
	v_pk_mul_f32 v[214:215], v[164:165], s[72:73]
	v_pk_add_f32 v[2:3], v[32:33], v[2:3]
	v_pk_fma_f32 v[212:213], v[136:137], s[54:55], v[214:215]
	v_pk_fma_f32 v[32:33], v[136:137], s[54:55], v[214:215] neg_lo:[1,0,0] neg_hi:[1,0,0]
	v_pk_mul_f32 v[218:219], v[162:163], s[64:65]
	v_mov_b32_e32 v32, v212
	v_pk_add_f32 v[2:3], v[32:33], v[2:3]
	v_pk_fma_f32 v[216:217], v[138:139], s[18:19], v[218:219]
	v_pk_fma_f32 v[32:33], v[138:139], s[18:19], v[218:219] neg_lo:[1,0,0] neg_hi:[1,0,0]
	v_pk_mul_f32 v[222:223], v[160:161], s[56:57]
	v_mov_b32_e32 v32, v216
	s_mov_b32 s65, 0x3f7ee86f
	v_pk_add_f32 v[2:3], v[32:33], v[2:3]
	v_pk_fma_f32 v[220:221], v[140:141], s[26:27], v[222:223]
	v_pk_fma_f32 v[32:33], v[140:141], s[26:27], v[222:223] neg_lo:[1,0,0] neg_hi:[1,0,0]
	s_mov_b32 s70, s65
	s_mov_b32 s71, s53
	v_mov_b32_e32 v32, v220
	s_mov_b32 s64, s53
	v_pk_mul_f32 v[226:227], v[158:159], s[70:71]
	v_pk_add_f32 v[2:3], v[32:33], v[2:3]
	v_pk_fma_f32 v[224:225], v[142:143], s[64:65], v[226:227]
	v_pk_fma_f32 v[32:33], v[142:143], s[64:65], v[226:227] neg_lo:[1,0,0] neg_hi:[1,0,0]
	v_pk_mul_f32 v[230:231], v[156:157], s[44:45]
	v_mov_b32_e32 v32, v224
	v_pk_add_f32 v[2:3], v[32:33], v[2:3]
	v_pk_fma_f32 v[228:229], v[144:145], s[0:1], v[230:231]
	v_pk_fma_f32 v[32:33], v[144:145], s[0:1], v[230:231] neg_lo:[1,0,0] neg_hi:[1,0,0]
	v_pk_mul_f32 v[234:235], v[154:155], s[46:47]
	v_mov_b32_e32 v32, v228
	v_pk_add_f32 v[2:3], v[32:33], v[2:3]
	v_pk_fma_f32 v[232:233], v[146:147], s[22:23], v[234:235]
	v_pk_fma_f32 v[32:33], v[146:147], s[22:23], v[234:235] neg_lo:[1,0,0] neg_hi:[1,0,0]
	s_mov_b32 s76, s47
	v_mov_b32_e32 v32, v232
	v_pk_add_f32 v[2:3], v[32:33], v[2:3]
	ds_write2_b64 v107, v[0:1], v[2:3] offset0:4 offset1:5
	v_pk_mul_f32 v[0:1], v[126:127], s[46:47] op_sel_hi:[1,0]
	v_pk_mul_f32 v[98:99], v[166:167], s[68:69]
	v_pk_fma_f32 v[172:173], v[168:169], s[76:77], v[0:1] op_sel:[0,0,1] op_sel_hi:[1,0,0]
	v_pk_fma_f32 v[0:1], v[168:169], s[76:77], v[0:1] op_sel:[0,0,1] op_sel_hi:[1,0,0] neg_lo:[0,0,1] neg_hi:[0,0,1]
	v_mov_b32_e32 v32, v172
	v_mov_b32_e32 v33, v1
	v_pk_fma_f32 v[104:105], v[134:135], s[28:29], v[98:99]
	v_pk_fma_f32 v[110:111], v[134:135], s[28:29], v[98:99] neg_lo:[1,0,0] neg_hi:[1,0,0]
	v_pk_add_f32 v[32:33], v[72:73], v[32:33]
	v_mov_b32_e32 v110, v104
	v_pk_add_f32 v[32:33], v[110:111], v[32:33]
	v_pk_mul_f32 v[110:111], v[164:165], s[44:45]
	v_pk_mul_f32 v[6:7], v[166:167], s[60:61]
	v_pk_fma_f32 v[102:103], v[136:137], s[0:1], v[110:111]
	v_pk_fma_f32 v[236:237], v[136:137], s[0:1], v[110:111] neg_lo:[1,0,0] neg_hi:[1,0,0]
	v_accvgpr_write_b32 a2, v112
	v_mov_b32_e32 v236, v102
	v_pk_add_f32 v[32:33], v[236:237], v[32:33]
	v_pk_mul_f32 v[236:237], v[162:163], s[48:49]
	v_pk_fma_f32 v[94:95], v[134:135], s[40:41], v[6:7]
	v_pk_fma_f32 v[238:239], v[138:139], s[20:21], v[236:237]
	v_pk_fma_f32 v[240:241], v[138:139], s[20:21], v[236:237] neg_lo:[1,0,0] neg_hi:[1,0,0]
	v_accvgpr_write_b32 a3, v113
	v_mov_b32_e32 v240, v238
	v_pk_add_f32 v[32:33], v[240:241], v[32:33]
	v_pk_mul_f32 v[240:241], v[160:161], s[70:71]
	v_accvgpr_write_b32 a4, v114
	v_pk_fma_f32 v[242:243], v[140:141], s[64:65], v[240:241]
	v_pk_fma_f32 v[244:245], v[140:141], s[64:65], v[240:241] neg_lo:[1,0,0] neg_hi:[1,0,0]
	v_accvgpr_write_b32 a5, v115
	v_mov_b32_e32 v244, v242
	v_pk_add_f32 v[32:33], v[244:245], v[32:33]
	v_pk_mul_f32 v[244:245], v[158:159], s[58:59]
	s_mov_b32 s58, s49
	v_pk_fma_f32 v[246:247], v[142:143], s[24:25], v[244:245]
	v_pk_fma_f32 v[248:249], v[142:143], s[24:25], v[244:245] neg_lo:[1,0,0] neg_hi:[1,0,0]
	v_pk_fma_f32 v[114:115], v[134:135], s[40:41], v[6:7] neg_lo:[1,0,0] neg_hi:[1,0,0]
	v_mov_b32_e32 v248, v246
	v_pk_add_f32 v[32:33], v[248:249], v[32:33]
	v_pk_mul_f32 v[248:249], v[156:157], s[56:57]
	v_mov_b32_e32 v114, v94
	v_pk_fma_f32 v[250:251], v[144:145], s[26:27], v[248:249]
	v_pk_fma_f32 v[252:253], v[144:145], s[26:27], v[248:249] neg_lo:[1,0,0] neg_hi:[1,0,0]
	v_accvgpr_write_b32 a63, v5
	v_mov_b32_e32 v252, v250
	v_pk_add_f32 v[32:33], v[252:253], v[32:33]
	v_pk_mul_f32 v[252:253], v[154:155], s[60:61]
	v_mov_b32_e32 v91, v170
	v_pk_fma_f32 v[100:101], v[146:147], s[40:41], v[252:253]
	v_pk_fma_f32 v[254:255], v[146:147], s[40:41], v[252:253] neg_lo:[1,0,0] neg_hi:[1,0,0]
	v_pk_mul_f32 v[166:167], v[166:167], s[62:63]
	v_mov_b32_e32 v254, v100
	v_pk_add_f32 v[32:33], v[254:255], v[32:33]
	v_pk_mul_f32 v[254:255], v[126:127], s[48:49] op_sel_hi:[1,0]
	v_pk_fma_f32 v[122:123], v[134:135], s[38:39], v[166:167]
	v_pk_fma_f32 v[96:97], v[168:169], s[58:59], v[254:255] op_sel:[0,0,1] op_sel_hi:[1,0,0]
	v_pk_fma_f32 v[254:255], v[168:169], s[58:59], v[254:255] op_sel:[0,0,1] op_sel_hi:[1,0,0] neg_lo:[0,0,1] neg_hi:[0,0,1]
	v_mov_b32_e32 v2, v96
	v_mov_b32_e32 v3, v255
	v_pk_add_f32 v[2:3], v[72:73], v[2:3]
	v_mov_b32_e32 v1, v118
	v_pk_add_f32 v[2:3], v[114:115], v[2:3]
	v_pk_mul_f32 v[114:115], v[164:165], s[52:53]
	v_pk_mul_f32 v[164:165], v[164:165], s[48:49]
	v_pk_fma_f32 v[92:93], v[136:137], s[14:15], v[114:115]
	v_pk_fma_f32 v[4:5], v[136:137], s[14:15], v[114:115] neg_lo:[1,0,0] neg_hi:[1,0,0]
	v_accvgpr_write_b32 a6, v116
	v_mov_b32_e32 v4, v92
	v_pk_add_f32 v[2:3], v[4:5], v[2:3]
	v_pk_mul_f32 v[4:5], v[162:163], s[74:75]
	v_pk_mul_f32 v[162:163], v[162:163], s[72:73]
	v_pk_fma_f32 v[88:89], v[138:139], s[66:67], v[4:5]
	v_pk_fma_f32 v[170:171], v[138:139], s[66:67], v[4:5] neg_lo:[1,0,0] neg_hi:[1,0,0]
	v_accvgpr_write_b32 a7, v117
	v_mov_b32_e32 v170, v88
	v_pk_add_f32 v[2:3], v[170:171], v[2:3]
	v_pk_mul_f32 v[170:171], v[160:161], s[44:45]
	s_mov_b32 s44, s57
	v_pk_fma_f32 v[86:87], v[140:141], s[0:1], v[170:171]
	v_pk_fma_f32 v[34:35], v[140:141], s[0:1], v[170:171] neg_lo:[1,0,0] neg_hi:[1,0,0]
	v_pk_fma_f32 v[116:117], v[138:139], s[54:55], v[162:163]
	v_mov_b32_e32 v34, v86
	v_pk_add_f32 v[2:3], v[34:35], v[2:3]
	v_pk_mul_f32 v[34:35], v[158:159], s[56:57]
	v_pk_mul_f32 v[160:161], v[160:161], s[46:47]
	v_pk_fma_f32 v[84:85], v[142:143], s[26:27], v[34:35]
	v_pk_fma_f32 v[74:75], v[142:143], s[26:27], v[34:35] neg_lo:[1,0,0] neg_hi:[1,0,0]
	v_mov_b32_e32 v250, v120
	v_mov_b32_e32 v74, v84
	v_pk_add_f32 v[2:3], v[74:75], v[2:3]
	v_pk_mul_f32 v[74:75], v[156:157], s[72:73]
	v_pk_fma_f32 v[120:121], v[140:141], s[22:23], v[160:161]
	v_pk_fma_f32 v[82:83], v[144:145], s[54:55], v[74:75]
	v_pk_fma_f32 v[76:77], v[144:145], s[54:55], v[74:75] neg_lo:[1,0,0] neg_hi:[1,0,0]
	v_pk_mul_f32 v[158:159], v[158:159], s[60:61]
	v_mov_b32_e32 v76, v82
	v_pk_add_f32 v[2:3], v[76:77], v[2:3]
	v_pk_mul_f32 v[76:77], v[154:155], s[42:43]
	v_accvgpr_write_b32 a30, v124
	v_pk_fma_f32 v[80:81], v[146:147], s[34:35], v[76:77]
	v_pk_fma_f32 v[78:79], v[146:147], s[34:35], v[76:77] neg_lo:[1,0,0] neg_hi:[1,0,0]
	v_accvgpr_write_b32 a31, v125
	v_mov_b32_e32 v78, v80
	v_pk_add_f32 v[2:3], v[78:79], v[2:3]
	ds_write2_b64 v107, v[32:33], v[2:3] offset0:6 offset1:7
	v_pk_mul_f32 v[2:3], v[126:127], s[56:57] op_sel_hi:[1,0]
	v_mov_b32_e32 v80, v119
	v_pk_fma_f32 v[32:33], v[168:169], s[44:45], v[2:3] op_sel:[0,0,1] op_sel_hi:[1,0,0]
	v_pk_fma_f32 v[2:3], v[168:169], s[44:45], v[2:3] op_sel:[0,0,1] op_sel_hi:[1,0,0] neg_lo:[0,0,1] neg_hi:[0,0,1]
	v_mov_b32_e32 v78, v32
	v_mov_b32_e32 v79, v3
	v_pk_fma_f32 v[168:169], v[134:135], s[38:39], v[166:167] neg_lo:[1,0,0] neg_hi:[1,0,0]
	v_mov_b32_e32 v3, v33
	v_pk_fma_f32 v[32:33], v[134:135], s[38:39], v[166:167] neg_lo:[0,0,1] neg_hi:[0,0,1]
	v_pk_add_f32 v[78:79], v[72:73], v[78:79]
	v_mov_b32_e32 v168, v122
	v_pk_add_f32 v[2:3], v[72:73], v[2:3]
	v_mov_b32_e32 v33, v123
	v_pk_add_f32 v[78:79], v[168:169], v[78:79]
	v_pk_fma_f32 v[118:119], v[136:137], s[20:21], v[164:165]
	v_pk_fma_f32 v[168:169], v[136:137], s[20:21], v[164:165] neg_lo:[1,0,0] neg_hi:[1,0,0]
	v_pk_add_f32 v[2:3], v[32:33], v[2:3]
	v_pk_fma_f32 v[32:33], v[136:137], s[20:21], v[164:165] neg_lo:[0,0,1] neg_hi:[0,0,1]
	v_mov_b32_e32 v168, v118
	v_mov_b32_e32 v33, v119
	v_pk_add_f32 v[78:79], v[168:169], v[78:79]
	v_pk_fma_f32 v[168:169], v[138:139], s[54:55], v[162:163] neg_lo:[1,0,0] neg_hi:[1,0,0]
	v_pk_add_f32 v[2:3], v[32:33], v[2:3]
	v_pk_fma_f32 v[32:33], v[138:139], s[54:55], v[162:163] neg_lo:[0,0,1] neg_hi:[0,0,1]
	v_mov_b32_e32 v168, v116
	v_mov_b32_e32 v33, v117
	v_pk_add_f32 v[78:79], v[168:169], v[78:79]
	;; [unrolled: 6-line block ×3, first 2 shown]
	v_pk_fma_f32 v[124:125], v[142:143], s[40:41], v[158:159]
	v_pk_fma_f32 v[168:169], v[142:143], s[40:41], v[158:159] neg_lo:[1,0,0] neg_hi:[1,0,0]
	v_pk_add_f32 v[2:3], v[32:33], v[2:3]
	v_pk_fma_f32 v[32:33], v[142:143], s[40:41], v[158:159] neg_lo:[0,0,1] neg_hi:[0,0,1]
	v_mov_b32_e32 v168, v124
	v_pk_mul_f32 v[156:157], v[156:157], s[42:43]
	v_mov_b32_e32 v33, v125
	v_pk_add_f32 v[78:79], v[168:169], v[78:79]
	v_pk_fma_f32 v[112:113], v[144:145], s[34:35], v[156:157]
	v_pk_fma_f32 v[168:169], v[144:145], s[34:35], v[156:157] neg_lo:[1,0,0] neg_hi:[1,0,0]
	v_pk_add_f32 v[2:3], v[32:33], v[2:3]
	v_pk_fma_f32 v[32:33], v[144:145], s[34:35], v[156:157] neg_lo:[0,0,1] neg_hi:[0,0,1]
	v_mov_b32_e32 v168, v112
	v_pk_mul_f32 v[154:155], v[154:155], s[70:71]
	v_mov_b32_e32 v33, v113
	v_pk_add_f32 v[78:79], v[168:169], v[78:79]
	v_pk_fma_f32 v[126:127], v[146:147], s[64:65], v[154:155]
	v_pk_fma_f32 v[168:169], v[146:147], s[64:65], v[154:155] neg_lo:[1,0,0] neg_hi:[1,0,0]
	v_pk_add_f32 v[2:3], v[32:33], v[2:3]
	v_pk_fma_f32 v[32:33], v[146:147], s[64:65], v[154:155] neg_lo:[0,0,1] neg_hi:[0,0,1]
	v_mov_b32_e32 v168, v126
	v_mov_b32_e32 v33, v127
	v_pk_add_f32 v[78:79], v[168:169], v[78:79]
	v_pk_add_f32 v[2:3], v[32:33], v[2:3]
	v_mov_b32_e32 v255, v97
	v_pk_fma_f32 v[6:7], v[134:135], s[40:41], v[6:7] neg_lo:[0,0,1] neg_hi:[0,0,1]
	ds_write2_b64 v107, v[78:79], v[2:3] offset0:8 offset1:9
	v_pk_add_f32 v[2:3], v[72:73], v[254:255]
	v_mov_b32_e32 v7, v95
	v_pk_add_f32 v[2:3], v[6:7], v[2:3]
	v_pk_fma_f32 v[6:7], v[136:137], s[14:15], v[114:115] neg_lo:[0,0,1] neg_hi:[0,0,1]
	v_pk_fma_f32 v[4:5], v[138:139], s[66:67], v[4:5] neg_lo:[0,0,1] neg_hi:[0,0,1]
	v_mov_b32_e32 v7, v93
	v_pk_add_f32 v[2:3], v[6:7], v[2:3]
	v_mov_b32_e32 v5, v89
	v_pk_add_f32 v[2:3], v[4:5], v[2:3]
	v_pk_fma_f32 v[4:5], v[140:141], s[0:1], v[170:171] neg_lo:[0,0,1] neg_hi:[0,0,1]
	v_mov_b32_e32 v118, v1
	v_mov_b32_e32 v5, v87
	v_pk_add_f32 v[2:3], v[4:5], v[2:3]
	v_pk_fma_f32 v[4:5], v[142:143], s[26:27], v[34:35] neg_lo:[0,0,1] neg_hi:[0,0,1]
	v_mov_b32_e32 v1, v173
	v_mov_b32_e32 v5, v85
	v_pk_add_f32 v[2:3], v[4:5], v[2:3]
	v_pk_fma_f32 v[4:5], v[144:145], s[54:55], v[74:75] neg_lo:[0,0,1] neg_hi:[0,0,1]
	v_pk_add_f32 v[0:1], v[72:73], v[0:1]
	v_mov_b32_e32 v5, v83
	v_pk_add_f32 v[2:3], v[4:5], v[2:3]
	v_pk_fma_f32 v[4:5], v[146:147], s[34:35], v[76:77] neg_lo:[0,0,1] neg_hi:[0,0,1]
	v_mov_b32_e32 v207, v205
	v_mov_b32_e32 v5, v81
	v_pk_add_f32 v[2:3], v[4:5], v[2:3]
	v_pk_fma_f32 v[4:5], v[134:135], s[28:29], v[98:99] neg_lo:[0,0,1] neg_hi:[0,0,1]
	v_accvgpr_read_b32 v175, a49
	v_mov_b32_e32 v5, v105
	v_pk_add_f32 v[0:1], v[4:5], v[0:1]
	v_pk_fma_f32 v[4:5], v[136:137], s[0:1], v[110:111] neg_lo:[0,0,1] neg_hi:[0,0,1]
	v_mov_b32_e32 v170, v91
	v_mov_b32_e32 v5, v103
	v_pk_add_f32 v[0:1], v[4:5], v[0:1]
	v_pk_fma_f32 v[4:5], v[138:139], s[20:21], v[236:237] neg_lo:[0,0,1] neg_hi:[0,0,1]
	v_accvgpr_read_b32 v91, a19
	v_mov_b32_e32 v5, v239
	v_pk_add_f32 v[0:1], v[4:5], v[0:1]
	v_pk_fma_f32 v[4:5], v[140:141], s[64:65], v[240:241] neg_lo:[0,0,1] neg_hi:[0,0,1]
	v_accvgpr_read_b32 v123, a29
	;; [unrolled: 4-line block ×5, first 2 shown]
	v_mov_b32_e32 v5, v101
	v_pk_add_f32 v[0:1], v[4:5], v[0:1]
	ds_write2_b64 v107, v[2:3], v[0:1] offset0:10 offset1:11
	v_pk_fma_f32 v[2:3], v[134:135], s[36:37], v[210:211] neg_lo:[0,0,1] neg_hi:[0,0,1]
	v_pk_add_f32 v[0:1], v[72:73], v[206:207]
	v_mov_b32_e32 v3, v209
	v_pk_add_f32 v[0:1], v[2:3], v[0:1]
	v_pk_fma_f32 v[2:3], v[136:137], s[54:55], v[214:215] neg_lo:[0,0,1] neg_hi:[0,0,1]
	v_pk_fma_f32 v[4:5], v[134:135], s[26:27], v[178:179] neg_lo:[0,0,1] neg_hi:[0,0,1]
	v_mov_b32_e32 v3, v213
	v_pk_add_f32 v[0:1], v[2:3], v[0:1]
	v_pk_fma_f32 v[2:3], v[138:139], s[18:19], v[218:219] neg_lo:[0,0,1] neg_hi:[0,0,1]
	v_accvgpr_read_b32 v5, a51
	v_mov_b32_e32 v3, v217
	v_pk_add_f32 v[0:1], v[2:3], v[0:1]
	v_pk_fma_f32 v[2:3], v[140:141], s[26:27], v[222:223] neg_lo:[0,0,1] neg_hi:[0,0,1]
	v_accvgpr_read_b32 v255, a23
	;; [unrolled: 4-line block ×5, first 2 shown]
	v_mov_b32_e32 v3, v233
	v_pk_add_f32 v[0:1], v[2:3], v[0:1]
	v_pk_add_f32 v[2:3], v[72:73], v[174:175]
	v_accvgpr_read_b32 v245, a15
	v_pk_add_f32 v[2:3], v[4:5], v[2:3]
	v_pk_fma_f32 v[4:5], v[136:137], s[28:29], v[182:183] neg_lo:[0,0,1] neg_hi:[0,0,1]
	v_accvgpr_read_b32 v253, a21
	v_accvgpr_read_b32 v5, a53
	v_pk_add_f32 v[2:3], v[4:5], v[2:3]
	v_pk_fma_f32 v[4:5], v[138:139], s[38:39], v[186:187] neg_lo:[0,0,1] neg_hi:[0,0,1]
	v_accvgpr_read_b32 v122, a28
	v_accvgpr_read_b32 v5, a55
	v_pk_add_f32 v[2:3], v[4:5], v[2:3]
	v_pk_fma_f32 v[4:5], v[140:141], s[18:19], v[190:191] neg_lo:[0,0,1] neg_hi:[0,0,1]
	v_mov_b32_e32 v119, v80
	v_accvgpr_read_b32 v5, a57
	v_pk_add_f32 v[2:3], v[4:5], v[2:3]
	v_pk_fma_f32 v[4:5], v[142:143], s[20:21], v[194:195] neg_lo:[0,0,1] neg_hi:[0,0,1]
	v_accvgpr_read_b32 v116, a6
	v_accvgpr_read_b32 v5, a59
	v_pk_add_f32 v[2:3], v[4:5], v[2:3]
	v_pk_fma_f32 v[4:5], v[144:145], s[66:67], v[198:199] neg_lo:[0,0,1] neg_hi:[0,0,1]
	v_accvgpr_read_b32 v120, a26
	;; [unrolled: 4-line block ×3, first 2 shown]
	v_accvgpr_read_b32 v5, a63
	v_pk_add_f32 v[2:3], v[4:5], v[2:3]
	ds_write2_b64 v107, v[0:1], v[2:3] offset0:12 offset1:13
	v_pk_fma_f32 v[2:3], v[134:135], s[22:23], v[200:201] neg_lo:[0,0,1] neg_hi:[0,0,1]
	v_pk_add_f32 v[0:1], v[72:73], v[90:91]
	v_accvgpr_read_b32 v3, a35
	v_pk_add_f32 v[0:1], v[2:3], v[0:1]
	v_pk_fma_f32 v[2:3], v[136:137], s[50:51], v[196:197] neg_lo:[0,0,1] neg_hi:[0,0,1]
	v_accvgpr_read_b32 v254, a22
	v_accvgpr_read_b32 v3, a37
	v_pk_add_f32 v[0:1], v[2:3], v[0:1]
	v_pk_fma_f32 v[2:3], v[138:139], s[28:29], v[192:193] neg_lo:[0,0,1] neg_hi:[0,0,1]
	v_accvgpr_read_b32 v114, a4
	v_accvgpr_read_b32 v3, a39
	v_pk_add_f32 v[0:1], v[2:3], v[0:1]
	v_pk_fma_f32 v[2:3], v[140:141], s[54:55], v[188:189] neg_lo:[0,0,1] neg_hi:[0,0,1]
	v_accvgpr_read_b32 v113, a3
	v_accvgpr_read_b32 v3, a41
	v_pk_add_f32 v[0:1], v[2:3], v[0:1]
	v_pk_fma_f32 v[2:3], v[142:143], s[0:1], v[184:185] neg_lo:[0,0,1] neg_hi:[0,0,1]
	v_accvgpr_read_b32 v112, a2
	v_accvgpr_read_b32 v3, a43
	v_pk_add_f32 v[0:1], v[2:3], v[0:1]
	v_pk_fma_f32 v[2:3], v[144:145], s[14:15], v[180:181] neg_lo:[0,0,1] neg_hi:[0,0,1]
	v_accvgpr_read_b32 v34, a32
	v_accvgpr_read_b32 v3, a45
	v_pk_add_f32 v[0:1], v[2:3], v[0:1]
	v_pk_fma_f32 v[2:3], v[146:147], s[20:21], v[176:177] neg_lo:[0,0,1] neg_hi:[0,0,1]
	v_accvgpr_read_b32 v111, a1
	v_accvgpr_read_b32 v3, a47
	v_pk_add_f32 v[0:1], v[2:3], v[0:1]
	v_accvgpr_read_b32 v2, a24
	v_accvgpr_read_b32 v110, a0
	;; [unrolled: 1-line block ×13, first 2 shown]
	ds_write2_b64 v107, v[0:1], v[2:3] offset0:14 offset1:15
	ds_write_b64 v107, v[242:243] offset:128
.LBB0_19:
	s_or_b64 exec, exec, s[30:31]
	v_add_u32_e32 v0, 0x1800, v109
	s_waitcnt lgkmcnt(0)
	s_barrier
	ds_read2_b64 v[72:75], v0 offset0:48 offset1:150
	v_add_u32_e32 v0, 0x800, v109
	ds_read2_b64 v[76:79], v0 offset0:152 offset1:254
	ds_read_b64 v[0:1], v109 offset:11424
	v_add_u32_e32 v91, 0x2400, v109
	ds_read2_b64 v[86:89], v91 offset0:72 offset1:174
	s_waitcnt lgkmcnt(3)
	v_pk_mul_f32 v[2:3], v[24:25], v[74:75]
	s_mov_b32 s0, 0x3f5db3d7
	v_pk_fma_f32 v[4:5], v[132:133], v[74:75], v[2:3] op_sel:[0,0,1] op_sel_hi:[1,1,0]
	v_pk_fma_f32 v[2:3], v[132:133], v[74:75], v[2:3] op_sel:[0,0,1] op_sel_hi:[1,1,0] neg_lo:[0,0,1] neg_hi:[0,0,1]
	v_add_u32_e32 v90, 0x400, v109
	v_mov_b32_e32 v5, v3
	s_waitcnt lgkmcnt(1)
	v_pk_mul_f32 v[2:3], v[26:27], v[0:1]
	ds_read2_b64 v[82:85], v90 offset0:76 offset1:178
	v_pk_fma_f32 v[6:7], v[130:131], v[0:1], v[2:3] op_sel:[0,0,1] op_sel_hi:[1,1,0]
	v_pk_fma_f32 v[0:1], v[130:131], v[0:1], v[2:3] op_sel:[0,0,1] op_sel_hi:[1,1,0] neg_lo:[0,0,1] neg_hi:[0,0,1]
	v_pk_mul_f32 v[8:9], v[8:9], v[78:79]
	v_mov_b32_e32 v7, v1
	v_pk_add_f32 v[0:1], v[76:77], v[4:5]
	v_pk_add_f32 v[2:3], v[4:5], v[6:7] neg_lo:[0,1] neg_hi:[0,1]
	v_pk_add_f32 v[24:25], v[0:1], v[6:7]
	v_pk_add_f32 v[0:1], v[4:5], v[6:7]
	v_pk_mul_f32 v[2:3], v[2:3], s[0:1] op_sel_hi:[1,0]
	v_pk_fma_f32 v[0:1], v[0:1], 0.5, v[76:77] op_sel_hi:[1,0,1] neg_lo:[1,0,0] neg_hi:[1,0,0]
	v_add_u32_e32 v6, 0x1000, v109
	v_pk_add_f32 v[76:77], v[2:3], v[0:1] op_sel:[1,0] op_sel_hi:[0,1]
	v_pk_add_f32 v[26:27], v[0:1], v[2:3] op_sel:[0,1] op_sel_hi:[1,0] neg_lo:[0,1] neg_hi:[0,1]
	v_pk_mul_f32 v[0:1], v[20:21], v[72:73]
	s_nop 0
	v_pk_fma_f32 v[2:3], v[128:129], v[72:73], v[0:1] op_sel:[0,0,1] op_sel_hi:[1,1,0]
	v_pk_fma_f32 v[0:1], v[128:129], v[72:73], v[0:1] op_sel:[0,0,1] op_sel_hi:[1,1,0] neg_lo:[0,0,1] neg_hi:[0,0,1]
	s_nop 0
	v_mov_b32_e32 v3, v1
	s_waitcnt lgkmcnt(1)
	v_pk_mul_f32 v[0:1], v[22:23], v[88:89]
	ds_read2_b64 v[20:23], v6 offset0:100 offset1:202
	v_pk_fma_f32 v[4:5], v[34:35], v[88:89], v[0:1] op_sel:[0,0,1] op_sel_hi:[1,1,0]
	v_pk_fma_f32 v[0:1], v[34:35], v[88:89], v[0:1] op_sel:[0,0,1] op_sel_hi:[1,1,0] neg_lo:[0,0,1] neg_hi:[0,0,1]
	v_add_u32_e32 v88, 0x1c00, v109
	v_mov_b32_e32 v5, v1
	v_pk_add_f32 v[0:1], v[2:3], v[4:5]
	v_pk_add_f32 v[6:7], v[2:3], v[4:5] neg_lo:[0,1] neg_hi:[0,1]
	s_waitcnt lgkmcnt(1)
	v_pk_fma_f32 v[0:1], v[0:1], 0.5, v[84:85] op_sel_hi:[1,0,1] neg_lo:[1,0,0] neg_hi:[1,0,0]
	v_pk_mul_f32 v[6:7], v[6:7], s[0:1] op_sel_hi:[1,0]
	ds_read2_b64 v[72:75], v88 offset0:124 offset1:226
	v_pk_add_f32 v[32:33], v[0:1], v[6:7] op_sel:[0,1] op_sel_hi:[1,0]
	v_pk_add_f32 v[0:1], v[0:1], v[6:7] op_sel:[0,1] op_sel_hi:[1,0] neg_lo:[0,1] neg_hi:[0,1]
	s_waitcnt lgkmcnt(1)
	v_pk_mul_f32 v[6:7], v[16:17], v[22:23]
	v_pk_mul_f32 v[12:13], v[12:13], v[20:21]
	v_pk_fma_f32 v[34:35], v[124:125], v[22:23], v[6:7] op_sel:[0,0,1] op_sel_hi:[1,1,0]
	v_pk_fma_f32 v[6:7], v[124:125], v[22:23], v[6:7] op_sel:[0,0,1] op_sel_hi:[1,1,0] neg_lo:[0,0,1] neg_hi:[0,0,1]
	v_pk_add_f32 v[2:3], v[84:85], v[2:3]
	v_mov_b32_e32 v35, v7
	v_pk_mul_f32 v[6:7], v[18:19], v[86:87]
	v_pk_add_f32 v[2:3], v[2:3], v[4:5]
	v_pk_fma_f32 v[22:23], v[122:123], v[86:87], v[6:7] op_sel:[0,0,1] op_sel_hi:[1,1,0]
	v_pk_fma_f32 v[6:7], v[122:123], v[86:87], v[6:7] op_sel:[0,0,1] op_sel_hi:[1,1,0] neg_lo:[0,0,1] neg_hi:[0,0,1]
	v_pk_fma_f32 v[86:87], v[120:121], v[20:21], v[12:13] op_sel:[0,0,1] op_sel_hi:[1,1,0]
	v_mov_b32_e32 v23, v7
	v_pk_add_f32 v[6:7], v[34:35], v[22:23]
	v_pk_add_f32 v[16:17], v[34:35], v[22:23] neg_lo:[0,1] neg_hi:[0,1]
	v_pk_fma_f32 v[6:7], v[6:7], 0.5, v[82:83] op_sel_hi:[1,0,1] neg_lo:[1,0,0] neg_hi:[1,0,0]
	v_pk_mul_f32 v[16:17], v[16:17], s[0:1] op_sel_hi:[1,0]
	v_pk_fma_f32 v[12:13], v[120:121], v[20:21], v[12:13] op_sel:[0,0,1] op_sel_hi:[1,1,0] neg_lo:[0,0,1] neg_hi:[0,0,1]
	v_pk_add_f32 v[80:81], v[6:7], v[16:17] op_sel:[0,1] op_sel_hi:[1,0]
	v_pk_add_f32 v[6:7], v[6:7], v[16:17] op_sel:[0,1] op_sel_hi:[1,0] neg_lo:[0,1] neg_hi:[0,1]
	ds_read2_b64 v[16:19], v109 offset1:102
	v_pk_fma_f32 v[20:21], v[150:151], v[78:79], v[8:9] op_sel:[0,0,1] op_sel_hi:[1,1,0]
	v_pk_fma_f32 v[8:9], v[150:151], v[78:79], v[8:9] op_sel:[0,0,1] op_sel_hi:[1,1,0] neg_lo:[0,0,1] neg_hi:[0,0,1]
	v_mov_b32_e32 v87, v13
	v_mov_b32_e32 v21, v9
	s_waitcnt lgkmcnt(1)
	v_pk_mul_f32 v[8:9], v[10:11], v[72:73]
	v_pk_mul_f32 v[12:13], v[14:15], v[74:75]
	v_pk_fma_f32 v[10:11], v[148:149], v[72:73], v[8:9] op_sel:[0,0,1] op_sel_hi:[1,1,0]
	v_pk_fma_f32 v[8:9], v[148:149], v[72:73], v[8:9] op_sel:[0,0,1] op_sel_hi:[1,1,0] neg_lo:[0,0,1] neg_hi:[0,0,1]
	v_pk_fma_f32 v[14:15], v[152:153], v[74:75], v[12:13] op_sel:[0,0,1] op_sel_hi:[1,1,0]
	v_mov_b32_e32 v11, v9
	s_waitcnt lgkmcnt(0)
	v_pk_add_f32 v[8:9], v[16:17], v[20:21]
	v_pk_add_f32 v[72:73], v[20:21], v[10:11]
	;; [unrolled: 1-line block ×3, first 2 shown]
	v_pk_add_f32 v[10:11], v[20:21], v[10:11] neg_lo:[0,1] neg_hi:[0,1]
	v_pk_fma_f32 v[16:17], v[72:73], 0.5, v[16:17] op_sel_hi:[1,0,1] neg_lo:[1,0,0] neg_hi:[1,0,0]
	v_pk_mul_f32 v[10:11], v[10:11], s[0:1] op_sel_hi:[1,0]
	v_pk_fma_f32 v[12:13], v[152:153], v[74:75], v[12:13] op_sel:[0,0,1] op_sel_hi:[1,1,0] neg_lo:[0,0,1] neg_hi:[0,0,1]
	v_pk_add_f32 v[20:21], v[16:17], v[10:11] op_sel:[0,1] op_sel_hi:[1,0] neg_lo:[0,1] neg_hi:[0,1]
	v_pk_add_f32 v[10:11], v[16:17], v[10:11] op_sel:[0,1] op_sel_hi:[1,0]
	v_mov_b32_e32 v15, v13
	v_mov_b32_e32 v16, v20
	;; [unrolled: 1-line block ×4, first 2 shown]
	s_barrier
	ds_write2_b64 v170, v[8:9], v[16:17] offset1:17
	ds_write_b64 v170, v[10:11] offset:272
	v_pk_add_f32 v[8:9], v[86:87], v[14:15]
	v_pk_add_f32 v[10:11], v[86:87], v[14:15] neg_lo:[0,1] neg_hi:[0,1]
	v_pk_add_f32 v[12:13], v[18:19], v[86:87]
	v_pk_fma_f32 v[8:9], v[8:9], 0.5, v[18:19] op_sel_hi:[1,0,1] neg_lo:[1,0,0] neg_hi:[1,0,0]
	v_pk_mul_f32 v[10:11], v[10:11], s[0:1] op_sel_hi:[1,0]
	v_pk_add_f32 v[12:13], v[12:13], v[14:15]
	v_pk_add_f32 v[14:15], v[8:9], v[10:11] op_sel:[0,1] op_sel_hi:[1,0] neg_lo:[0,1] neg_hi:[0,1]
	v_pk_add_f32 v[8:9], v[8:9], v[10:11] op_sel:[0,1] op_sel_hi:[1,0]
	v_mov_b32_e32 v10, v14
	v_mov_b32_e32 v11, v9
	;; [unrolled: 1-line block ×3, first 2 shown]
	ds_write_b64 v119, v[8:9] offset:272
	v_pk_add_f32 v[8:9], v[82:83], v[34:35]
	ds_write2_b64 v119, v[12:13], v[10:11] offset1:17
	v_pk_add_f32 v[8:9], v[8:9], v[22:23]
	v_mov_b32_e32 v10, v6
	v_mov_b32_e32 v11, v81
	;; [unrolled: 1-line block ×8, first 2 shown]
	ds_write2_b64 v118, v[8:9], v[10:11] offset1:17
	ds_write_b64 v118, v[80:81] offset:272
	ds_write2_b64 v111, v[2:3], v[4:5] offset1:17
	ds_write_b64 v111, v[32:33] offset:272
	ds_write2_b64 v249, v[24:25], v[0:1] offset1:17
	v_mov_b32_e32 v0, v76
	v_mov_b32_e32 v1, v27
	ds_write_b64 v249, v[0:1] offset:272
	v_add_u32_e32 v0, 0xc00, v109
	s_waitcnt lgkmcnt(0)
	s_barrier
	ds_read2_b64 v[8:11], v109 offset1:102
	ds_read2_b64 v[82:85], v90 offset0:127 offset1:229
	ds_read2_b64 v[72:75], v0 offset0:126 offset1:228
	v_add_u32_e32 v0, 0x1400, v109
	ds_read2_b64 v[20:23], v0 offset0:125 offset1:227
	ds_read2_b64 v[16:19], v88 offset0:124 offset1:226
	;; [unrolled: 1-line block ×3, first 2 shown]
	s_and_saveexec_b64 s[0:1], s[4:5]
	s_xor_b64 s[0:1], exec, s[0:1]
	s_or_saveexec_b64 s[0:1], s[0:1]
	v_mov_b32_e32 v138, v28
	v_mov_b32_e32 v139, v28
	v_mov_b32_e32 v28, v29
	v_mov_b32_e32 v136, v30
	v_mov_b32_e32 v137, v30
	v_mov_b32_e32 v30, v31
	v_mov_b32_e32 v134, v36
	v_mov_b32_e32 v135, v36
	v_mov_b32_e32 v36, v37
	v_mov_b32_e32 v132, v38
	v_mov_b32_e32 v133, v38
	v_mov_b32_e32 v38, v39
	v_mov_b32_e32 v130, v254
	v_mov_b32_e32 v131, v254
	v_mov_b32_e32 v254, v255
	v_mov_b32_e32 v128, v60
	v_mov_b32_e32 v129, v60
	v_mov_b32_e32 v60, v61
	v_mov_b32_e32 v126, v62
	v_mov_b32_e32 v127, v62
	v_mov_b32_e32 v62, v63
	v_mov_b32_e32 v124, v56
	v_mov_b32_e32 v125, v56
	v_mov_b32_e32 v56, v57
	v_mov_b32_e32 v122, v58
	v_mov_b32_e32 v123, v58
	v_mov_b32_e32 v58, v59
	v_mov_b32_e32 v120, v252
	v_mov_b32_e32 v121, v252
	v_mov_b32_e32 v252, v253
	s_xor_b64 exec, exec, s[0:1]
	s_cbranch_execz .LBB0_21
; %bb.20:
	v_add_u32_e32 v0, 0x660, v109
	v_add_u32_e32 v1, 0x1650, v109
	ds_read2_b64 v[2:5], v1 offset1:255
	ds_read2_b64 v[24:27], v0 offset1:255
	v_add_u32_e32 v0, 0x2640, v109
	ds_read2_b64 v[242:245], v0 offset1:255
	s_waitcnt lgkmcnt(2)
	v_accvgpr_write_b32 a25, v5
	v_mov_b32_e32 v76, v2
	s_waitcnt lgkmcnt(1)
	v_mov_b32_e32 v77, v27
	v_accvgpr_write_b32 a24, v4
	v_mov_b32_e32 v27, v3
.LBB0_21:
	s_or_b64 exec, exec, s[0:1]
	s_waitcnt lgkmcnt(3)
	v_pk_mul_f32 v[2:3], v[30:31], v[72:73]
	s_waitcnt lgkmcnt(2)
	v_pk_mul_f32 v[4:5], v[36:37], v[20:21]
	;; [unrolled: 2-line block ×3, first 2 shown]
	v_pk_fma_f32 v[58:59], v[136:137], v[72:73], v[2:3] op_sel:[0,0,1] op_sel_hi:[1,1,0]
	v_pk_fma_f32 v[2:3], v[136:137], v[72:73], v[2:3] op_sel:[0,0,1] op_sel_hi:[1,1,0] neg_lo:[0,0,1] neg_hi:[0,0,1]
	v_pk_mul_f32 v[6:7], v[38:39], v[16:17]
	v_mov_b32_e32 v59, v3
	v_pk_fma_f32 v[2:3], v[134:135], v[20:21], v[4:5] op_sel:[0,0,1] op_sel_hi:[1,1,0]
	v_pk_fma_f32 v[4:5], v[134:135], v[20:21], v[4:5] op_sel:[0,0,1] op_sel_hi:[1,1,0] neg_lo:[0,0,1] neg_hi:[0,0,1]
	v_pk_mul_f32 v[0:1], v[28:29], v[82:83]
	s_waitcnt lgkmcnt(0)
	v_pk_mul_f32 v[28:29], v[254:255], v[12:13]
	v_mov_b32_e32 v3, v5
	v_pk_fma_f32 v[4:5], v[132:133], v[16:17], v[6:7] op_sel:[0,0,1] op_sel_hi:[1,1,0]
	v_pk_fma_f32 v[6:7], v[132:133], v[16:17], v[6:7] op_sel:[0,0,1] op_sel_hi:[1,1,0] neg_lo:[0,0,1] neg_hi:[0,0,1]
	v_pk_mul_f32 v[34:35], v[56:57], v[22:23]
	v_mov_b32_e32 v5, v7
	v_pk_fma_f32 v[6:7], v[130:131], v[12:13], v[28:29] op_sel:[0,0,1] op_sel_hi:[1,1,0]
	v_pk_fma_f32 v[12:13], v[130:131], v[12:13], v[28:29] op_sel:[0,0,1] op_sel_hi:[1,1,0] neg_lo:[0,0,1] neg_hi:[0,0,1]
	v_pk_fma_f32 v[56:57], v[138:139], v[82:83], v[0:1] op_sel:[0,0,1] op_sel_hi:[1,1,0]
	v_pk_fma_f32 v[0:1], v[138:139], v[82:83], v[0:1] op_sel:[0,0,1] op_sel_hi:[1,1,0] neg_lo:[0,0,1] neg_hi:[0,0,1]
	v_mov_b32_e32 v7, v13
	v_mov_b32_e32 v57, v1
	v_pk_add_f32 v[16:17], v[2:3], v[6:7]
	s_mov_b32 s0, -0.5
	v_pk_add_f32 v[12:13], v[8:9], v[58:59]
	s_mov_b32 s1, 0x3f5db3d7
	v_mov_b32_e32 v0, v56
	v_pk_add_f32 v[20:21], v[2:3], v[6:7] neg_lo:[0,1] neg_hi:[0,1]
	v_pk_add_f32 v[2:3], v[56:57], v[2:3]
	v_fmac_f32_e32 v1, -0.5, v17
	s_mov_b32 s18, 0.5
	v_pk_add_f32 v[12:13], v[12:13], v[4:5]
	v_fmac_f32_e32 v0, -0.5, v16
	v_pk_add_f32 v[2:3], v[2:3], v[6:7]
	v_fmamk_f32 v6, v20, 0x3f5db3d7, v1
	v_pk_add_f32 v[28:29], v[58:59], v[4:5]
	v_pk_add_f32 v[4:5], v[58:59], v[4:5] neg_lo:[0,1] neg_hi:[0,1]
	s_mov_b32 s14, s1
	s_mov_b32 s20, s1
	;; [unrolled: 1-line block ×3, first 2 shown]
	v_fmamk_f32 v16, v21, 0xbf5db3d7, v0
	v_pk_fma_f32 v[8:9], v[28:29], 0.5, v[8:9] op_sel_hi:[1,0,1] neg_lo:[1,0,0] neg_hi:[1,0,0]
	v_pk_mul_f32 v[4:5], v[4:5], s[14:15] op_sel_hi:[1,0]
	s_mov_b32 s19, s1
	v_pk_mul_f32 v[6:7], v[6:7], s[20:21] op_sel_hi:[0,1]
	v_pk_add_f32 v[28:29], v[8:9], v[4:5] op_sel:[0,1] op_sel_hi:[1,0] neg_lo:[0,1] neg_hi:[0,1]
	v_pk_add_f32 v[4:5], v[8:9], v[4:5] op_sel:[0,1] op_sel_hi:[1,0]
	v_pk_fma_f32 v[56:57], v[16:17], s[18:19], v[6:7] neg_lo:[0,0,1] neg_hi:[0,0,1]
	v_pk_fma_f32 v[6:7], v[16:17], s[18:19], v[6:7] op_sel_hi:[0,1,1]
	v_mov_b32_e32 v8, v28
	v_mov_b32_e32 v9, v5
	;; [unrolled: 1-line block ×3, first 2 shown]
	v_fmac_f32_e32 v0, 0x3f5db3d7, v21
	v_fmac_f32_e32 v1, 0xbf5db3d7, v20
	v_pk_add_f32 v[20:21], v[12:13], v[2:3]
	v_pk_add_f32 v[6:7], v[8:9], v[56:57]
	s_barrier
	ds_write2_b64 v248, v[20:21], v[6:7] offset1:51
	v_mov_b32_e32 v6, v1
	v_pk_mul_f32 v[6:7], v[6:7], s[20:21] op_sel_hi:[0,1]
	v_pk_fma_f32 v[0:1], v[0:1], s[0:1], v[6:7] op_sel_hi:[0,1,1] neg_lo:[0,0,1] neg_hi:[0,0,1]
	v_mov_b32_e32 v5, v29
	v_pk_mul_f32 v[32:33], v[62:63], v[74:75]
	v_pk_add_f32 v[6:7], v[4:5], v[0:1]
	v_pk_add_f32 v[2:3], v[12:13], v[2:3] neg_lo:[0,1] neg_hi:[0,1]
	ds_write2_b64 v248, v[6:7], v[2:3] offset0:102 offset1:153
	v_pk_add_f32 v[0:1], v[4:5], v[0:1] neg_lo:[0,1] neg_hi:[0,1]
	v_pk_fma_f32 v[4:5], v[126:127], v[74:75], v[32:33] op_sel:[0,0,1] op_sel_hi:[1,1,0]
	v_pk_fma_f32 v[6:7], v[126:127], v[74:75], v[32:33] op_sel:[0,0,1] op_sel_hi:[1,1,0] neg_lo:[0,0,1] neg_hi:[0,0,1]
	v_pk_add_f32 v[2:3], v[8:9], v[56:57] neg_lo:[0,1] neg_hi:[0,1]
	v_mov_b32_e32 v5, v7
	v_pk_fma_f32 v[6:7], v[124:125], v[22:23], v[34:35] op_sel:[0,0,1] op_sel_hi:[1,1,0]
	v_pk_fma_f32 v[8:9], v[124:125], v[22:23], v[34:35] op_sel:[0,0,1] op_sel_hi:[1,1,0] neg_lo:[0,0,1] neg_hi:[0,0,1]
	v_pk_mul_f32 v[38:39], v[252:253], v[14:15]
	v_mov_b32_e32 v7, v9
	v_pk_fma_f32 v[8:9], v[122:123], v[18:19], v[36:37] op_sel:[0,0,1] op_sel_hi:[1,1,0]
	v_pk_fma_f32 v[12:13], v[122:123], v[18:19], v[36:37] op_sel:[0,0,1] op_sel_hi:[1,1,0] neg_lo:[0,0,1] neg_hi:[0,0,1]
	v_pk_mul_f32 v[30:31], v[60:61], v[84:85]
	v_mov_b32_e32 v9, v13
	v_pk_fma_f32 v[12:13], v[120:121], v[14:15], v[38:39] op_sel:[0,0,1] op_sel_hi:[1,1,0]
	v_pk_fma_f32 v[14:15], v[120:121], v[14:15], v[38:39] op_sel:[0,0,1] op_sel_hi:[1,1,0] neg_lo:[0,0,1] neg_hi:[0,0,1]
	ds_write2_b64 v248, v[2:3], v[0:1] offset0:204 offset1:255
	v_pk_fma_f32 v[0:1], v[128:129], v[84:85], v[30:31] op_sel:[0,0,1] op_sel_hi:[1,1,0]
	v_pk_fma_f32 v[2:3], v[128:129], v[84:85], v[30:31] op_sel:[0,0,1] op_sel_hi:[1,1,0] neg_lo:[0,0,1] neg_hi:[0,0,1]
	v_mov_b32_e32 v13, v15
	v_pk_add_f32 v[16:17], v[6:7], v[12:13]
	v_mov_b32_e32 v2, v0
	v_mov_b32_e32 v1, v3
	v_fmac_f32_e32 v2, -0.5, v16
	v_pk_add_f32 v[18:19], v[6:7], v[12:13] neg_lo:[0,1] neg_hi:[0,1]
	v_fmac_f32_e32 v3, -0.5, v17
	v_pk_add_f32 v[14:15], v[10:11], v[4:5]
	v_fmamk_f32 v16, v19, 0xbf5db3d7, v2
	v_fmac_f32_e32 v2, 0x3f5db3d7, v19
	v_pk_add_f32 v[0:1], v[0:1], v[6:7]
	v_fmamk_f32 v6, v18, 0x3f5db3d7, v3
	v_fmac_f32_e32 v3, 0xbf5db3d7, v18
	v_pk_add_f32 v[18:19], v[4:5], v[8:9]
	v_pk_add_f32 v[4:5], v[4:5], v[8:9] neg_lo:[0,1] neg_hi:[0,1]
	v_pk_fma_f32 v[10:11], v[18:19], 0.5, v[10:11] op_sel_hi:[1,0,1] neg_lo:[1,0,0] neg_hi:[1,0,0]
	v_pk_mul_f32 v[4:5], v[4:5], s[14:15] op_sel_hi:[1,0]
	v_pk_mul_f32 v[6:7], v[6:7], s[20:21] op_sel_hi:[0,1]
	v_pk_add_f32 v[14:15], v[14:15], v[8:9]
	v_pk_add_f32 v[8:9], v[10:11], v[4:5] op_sel:[0,1] op_sel_hi:[1,0] neg_lo:[0,1] neg_hi:[0,1]
	v_pk_add_f32 v[4:5], v[10:11], v[4:5] op_sel:[0,1] op_sel_hi:[1,0]
	v_pk_fma_f32 v[18:19], v[16:17], s[18:19], v[6:7] neg_lo:[0,0,1] neg_hi:[0,0,1]
	v_pk_fma_f32 v[6:7], v[16:17], s[18:19], v[6:7] op_sel_hi:[0,1,1]
	v_pk_add_f32 v[0:1], v[0:1], v[12:13]
	v_mov_b32_e32 v10, v8
	v_mov_b32_e32 v11, v5
	;; [unrolled: 1-line block ×3, first 2 shown]
	v_pk_add_f32 v[12:13], v[14:15], v[0:1]
	v_pk_add_f32 v[6:7], v[10:11], v[18:19]
	ds_write2_b64 v251, v[12:13], v[6:7] offset1:51
	v_mov_b32_e32 v6, v3
	v_pk_mul_f32 v[6:7], v[6:7], s[20:21] op_sel_hi:[0,1]
	v_pk_fma_f32 v[2:3], v[2:3], s[0:1], v[6:7] op_sel_hi:[0,1,1] neg_lo:[0,0,1] neg_hi:[0,0,1]
	v_mov_b32_e32 v5, v9
	v_pk_add_f32 v[6:7], v[4:5], v[2:3]
	v_pk_add_f32 v[0:1], v[14:15], v[0:1] neg_lo:[0,1] neg_hi:[0,1]
	v_mov_b32_e32 v118, v52
	v_mov_b32_e32 v119, v52
	v_mov_b32_e32 v52, v53
	v_mov_b32_e32 v104, v54
	v_mov_b32_e32 v105, v54
	v_mov_b32_e32 v54, v55
	v_mov_b32_e32 v102, v48
	v_mov_b32_e32 v103, v48
	v_mov_b32_e32 v48, v49
	v_mov_b32_e32 v100, v50
	v_mov_b32_e32 v101, v50
	v_mov_b32_e32 v50, v51
	v_mov_b32_e32 v98, v44
	v_mov_b32_e32 v99, v44
	v_mov_b32_e32 v44, v45
	v_mov_b32_e32 v96, v46
	v_mov_b32_e32 v97, v46
	v_mov_b32_e32 v46, v47
	v_mov_b32_e32 v94, v40
	v_mov_b32_e32 v95, v40
	v_mov_b32_e32 v40, v41
	v_mov_b32_e32 v92, v42
	v_mov_b32_e32 v93, v42
	v_mov_b32_e32 v42, v43
	v_mov_b32_e32 v90, v68
	v_mov_b32_e32 v91, v68
	v_mov_b32_e32 v68, v69
	v_mov_b32_e32 v88, v70
	v_mov_b32_e32 v89, v70
	v_mov_b32_e32 v70, v71
	v_mov_b32_e32 v86, v64
	v_mov_b32_e32 v87, v64
	v_mov_b32_e32 v64, v65
	v_mov_b32_e32 v78, v66
	v_mov_b32_e32 v79, v66
	v_mov_b32_e32 v66, v67
	s_mov_b32 s4, 0xbf5db3d7
	ds_write2_b64 v251, v[6:7], v[0:1] offset0:102 offset1:153
	v_pk_add_f32 v[0:1], v[10:11], v[18:19] neg_lo:[0,1] neg_hi:[0,1]
	v_pk_add_f32 v[2:3], v[4:5], v[2:3] neg_lo:[0,1] neg_hi:[0,1]
	ds_write2_b64 v251, v[0:1], v[2:3] offset0:204 offset1:255
	s_and_saveexec_b64 s[14:15], s[2:3]
	s_cbranch_execz .LBB0_23
; %bb.22:
	v_pk_mul_f32 v[0:1], v[114:115], v[26:27] op_sel:[0,1]
	v_accvgpr_read_b32 v18, a24
	v_pk_mul_f32 v[2:3], v[240:241], v[242:243] op_sel:[0,1]
	v_accvgpr_read_b32 v19, a25
	v_pk_fma_f32 v[10:11], v[114:115], v[76:77], v[0:1] op_sel:[0,0,1] op_sel_hi:[1,1,0]
	v_pk_fma_f32 v[0:1], v[114:115], v[76:77], v[0:1] op_sel:[0,0,1] op_sel_hi:[1,0,0] neg_lo:[1,0,0] neg_hi:[1,0,0]
	v_pk_mul_f32 v[6:7], v[238:239], v[18:19] op_sel:[0,1]
	v_mov_b32_e32 v8, v245
	v_mov_b32_e32 v11, v1
	v_pk_fma_f32 v[0:1], v[240:241], v[242:243], v[2:3] op_sel:[0,0,1] op_sel_hi:[1,1,0]
	v_pk_fma_f32 v[2:3], v[240:241], v[242:243], v[2:3] op_sel:[0,0,1] op_sel_hi:[1,0,0] neg_lo:[1,0,0] neg_hi:[1,0,0]
	v_pk_mul_f32 v[8:9], v[116:117], v[8:9] op_sel_hi:[1,0]
	v_mov_b32_e32 v1, v3
	v_pk_fma_f32 v[16:17], v[238:239], v[18:19], v[6:7] op_sel:[0,0,1] op_sel_hi:[1,1,0]
	v_pk_fma_f32 v[6:7], v[238:239], v[18:19], v[6:7] op_sel:[0,0,1] op_sel_hi:[1,0,0] neg_lo:[1,0,0] neg_hi:[1,0,0]
	v_pk_add_f32 v[2:3], v[10:11], v[0:1]
	v_pk_add_f32 v[12:13], v[10:11], v[0:1] neg_lo:[0,1] neg_hi:[0,1]
	s_mov_b32 s2, s1
	v_mov_b32_e32 v17, v7
	v_pk_fma_f32 v[6:7], v[116:117], v[244:245], v[8:9] op_sel:[0,0,1] op_sel_hi:[1,1,0]
	v_pk_fma_f32 v[8:9], v[116:117], v[244:245], v[8:9] op_sel:[0,0,1] op_sel_hi:[1,0,0] neg_lo:[1,0,0] neg_hi:[1,0,0]
	v_pk_mul_f32 v[4:5], v[112:113], v[76:77] op_sel:[0,1]
	v_pk_fma_f32 v[2:3], -0.5, v[2:3], v[24:25] op_sel_hi:[0,1,1]
	v_pk_mul_f32 v[12:13], v[12:13], s[2:3] op_sel_hi:[1,0]
	v_mov_b32_e32 v7, v9
	v_pk_add_f32 v[14:15], v[12:13], v[2:3] op_sel:[1,0] op_sel_hi:[0,1]
	v_pk_add_f32 v[2:3], v[2:3], v[12:13] op_sel:[0,1] op_sel_hi:[1,0] neg_lo:[0,1] neg_hi:[0,1]
	v_pk_add_f32 v[8:9], v[16:17], v[6:7]
	v_pk_fma_f32 v[18:19], v[112:113], v[26:27], v[4:5] op_sel:[0,0,1] op_sel_hi:[1,0,0]
	v_pk_fma_f32 v[4:5], v[112:113], v[26:27], v[4:5] op_sel:[0,0,1] op_sel_hi:[1,0,0] neg_lo:[1,0,0] neg_hi:[1,0,0]
	v_mov_b32_e32 v13, v3
	v_mov_b32_e32 v19, v5
	;; [unrolled: 1-line block ×3, first 2 shown]
	v_pk_add_f32 v[20:21], v[16:17], v[6:7] neg_lo:[0,1] neg_hi:[0,1]
	v_fmac_f32_e32 v5, -0.5, v9
	v_fmac_f32_e32 v3, -0.5, v8
	v_fmamk_f32 v8, v20, 0xbf5db3d7, v5
	v_fmac_f32_e32 v5, 0x3f5db3d7, v20
	v_mov_b32_e32 v12, v14
	v_fmamk_f32 v4, v21, 0x3f5db3d7, v3
	v_fmac_f32_e32 v3, 0xbf5db3d7, v21
	v_mul_f32_e32 v14, 0.5, v5
	v_fmac_f32_e32 v14, 0x3f5db3d7, v3
	v_mul_f32_e32 v20, 0xbf5db3d7, v5
	v_pk_add_f32 v[16:17], v[18:19], v[16:17]
	s_mov_b32 s5, s0
	v_pk_add_f32 v[10:11], v[24:25], v[10:11]
	v_fmac_f32_e32 v20, 0.5, v3
	v_pk_add_f32 v[6:7], v[16:17], v[6:7]
	v_sub_f32_e32 v5, v15, v14
	v_pk_mul_f32 v[8:9], v[8:9], s[4:5] op_sel_hi:[0,1]
	v_pk_add_f32 v[0:1], v[10:11], v[0:1]
	v_pk_fma_f32 v[8:9], v[4:5], s[0:1], v[8:9] op_sel_hi:[0,1,1]
	v_sub_f32_e32 v4, v2, v20
	v_pk_add_f32 v[10:11], v[0:1], v[6:7] neg_lo:[0,1] neg_hi:[0,1]
	v_add_f32_e32 v3, v15, v14
	v_add_f32_e32 v2, v2, v20
	v_pk_add_f32 v[0:1], v[0:1], v[6:7]
	v_add_u32_e32 v6, 0x2000, v250
	ds_write2_b64 v6, v[0:1], v[2:3] offset0:200 offset1:251
	v_pk_add_f32 v[0:1], v[12:13], v[8:9]
	v_add_u32_e32 v2, 0x2800, v250
	v_pk_add_f32 v[16:17], v[12:13], v[8:9] neg_lo:[0,1] neg_hi:[0,1]
	ds_write2_b64 v2, v[0:1], v[10:11] offset0:46 offset1:97
	ds_write2_b64 v2, v[4:5], v[16:17] offset0:148 offset1:199
.LBB0_23:
	s_or_b64 exec, exec, s[14:15]
	v_add_u32_e32 v56, 0x400, v109
	s_waitcnt lgkmcnt(0)
	s_barrier
	ds_read2_b64 v[4:7], v56 offset0:76 offset1:178
	v_add_u32_e32 v57, 0x1000, v109
	ds_read2_b64 v[8:11], v57 offset0:100 offset1:202
	v_add_u32_e32 v58, 0x1800, v109
	;; [unrolled: 2-line block ×3, first 2 shown]
	s_waitcnt lgkmcnt(2)
	v_pk_mul_f32 v[20:21], v[52:53], v[6:7]
	ds_read2_b64 v[16:19], v59 offset0:72 offset1:174
	v_pk_fma_f32 v[22:23], v[118:119], v[6:7], v[20:21] op_sel:[0,0,1] op_sel_hi:[1,1,0]
	v_pk_fma_f32 v[6:7], v[118:119], v[6:7], v[20:21] op_sel:[0,0,1] op_sel_hi:[1,1,0] neg_lo:[0,0,1] neg_hi:[0,0,1]
	ds_read2_b64 v[0:3], v109 offset1:102
	v_mov_b32_e32 v23, v7
	s_waitcnt lgkmcnt(3)
	v_pk_mul_f32 v[6:7], v[54:55], v[8:9]
	s_movk_i32 s3, 0x1000
	v_pk_fma_f32 v[20:21], v[104:105], v[8:9], v[6:7] op_sel:[0,0,1] op_sel_hi:[1,1,0]
	v_pk_fma_f32 v[6:7], v[104:105], v[8:9], v[6:7] op_sel:[0,0,1] op_sel_hi:[1,1,0] neg_lo:[0,0,1] neg_hi:[0,0,1]
	s_mov_b32 s2, 0x3f737871
	v_mov_b32_e32 v21, v7
	s_waitcnt lgkmcnt(2)
	v_pk_mul_f32 v[6:7], v[48:49], v[14:15]
	s_mov_b32 s4, 0x3f167918
	v_pk_fma_f32 v[24:25], v[102:103], v[14:15], v[6:7] op_sel:[0,0,1] op_sel_hi:[1,1,0]
	v_pk_fma_f32 v[6:7], v[102:103], v[14:15], v[6:7] op_sel:[0,0,1] op_sel_hi:[1,1,0] neg_lo:[0,0,1] neg_hi:[0,0,1]
	s_mov_b32 s0, 0x3e9e377a
	v_mov_b32_e32 v25, v7
	s_waitcnt lgkmcnt(1)
	v_pk_mul_f32 v[6:7], v[50:51], v[16:17]
	v_add_u32_e32 v50, 0x800, v109
	v_pk_fma_f32 v[26:27], v[100:101], v[16:17], v[6:7] op_sel:[0,0,1] op_sel_hi:[1,1,0]
	v_pk_fma_f32 v[6:7], v[100:101], v[16:17], v[6:7] op_sel:[0,0,1] op_sel_hi:[1,1,0] neg_lo:[0,0,1] neg_hi:[0,0,1]
	v_add_u32_e32 v51, 0x1c00, v109
	v_mov_b32_e32 v27, v7
	s_waitcnt lgkmcnt(0)
	v_pk_add_f32 v[6:7], v[0:1], v[22:23]
	v_pk_add_f32 v[38:39], v[22:23], v[26:27] neg_lo:[0,1] neg_hi:[0,1]
	v_pk_add_f32 v[14:15], v[6:7], v[20:21]
	ds_read2_b64 v[6:9], v50 offset0:152 offset1:254
	v_pk_add_f32 v[14:15], v[14:15], v[24:25]
	v_pk_add_f32 v[48:49], v[26:27], v[24:25] neg_lo:[0,1] neg_hi:[0,1]
	v_pk_add_f32 v[28:29], v[14:15], v[26:27]
	ds_read2_b64 v[14:17], v51 offset0:124 offset1:226
	s_waitcnt lgkmcnt(1)
	v_pk_mul_f32 v[30:31], v[44:45], v[6:7]
	v_pk_mul_f32 v[34:35], v[68:69], v[8:9]
	v_pk_fma_f32 v[32:33], v[98:99], v[6:7], v[30:31] op_sel:[0,0,1] op_sel_hi:[1,1,0]
	v_pk_fma_f32 v[6:7], v[98:99], v[6:7], v[30:31] op_sel:[0,0,1] op_sel_hi:[1,1,0] neg_lo:[0,0,1] neg_hi:[0,0,1]
	v_pk_fma_f32 v[36:37], v[90:91], v[8:9], v[34:35] op_sel:[0,0,1] op_sel_hi:[1,1,0]
	v_mov_b32_e32 v33, v7
	v_pk_mul_f32 v[6:7], v[46:47], v[10:11]
	v_pk_fma_f32 v[8:9], v[90:91], v[8:9], v[34:35] op_sel:[0,0,1] op_sel_hi:[1,1,0] neg_lo:[0,0,1] neg_hi:[0,0,1]
	v_pk_fma_f32 v[30:31], v[96:97], v[10:11], v[6:7] op_sel:[0,0,1] op_sel_hi:[1,1,0]
	v_pk_fma_f32 v[6:7], v[96:97], v[10:11], v[6:7] op_sel:[0,0,1] op_sel_hi:[1,1,0] neg_lo:[0,0,1] neg_hi:[0,0,1]
	v_mov_b32_e32 v37, v9
	v_mov_b32_e32 v31, v7
	s_waitcnt lgkmcnt(0)
	v_pk_mul_f32 v[6:7], v[40:41], v[14:15]
	v_pk_mul_f32 v[8:9], v[70:71], v[12:13]
	v_pk_fma_f32 v[10:11], v[94:95], v[14:15], v[6:7] op_sel:[0,0,1] op_sel_hi:[1,1,0]
	v_pk_fma_f32 v[6:7], v[94:95], v[14:15], v[6:7] op_sel:[0,0,1] op_sel_hi:[1,1,0] neg_lo:[0,0,1] neg_hi:[0,0,1]
	v_pk_fma_f32 v[34:35], v[88:89], v[12:13], v[8:9] op_sel:[0,0,1] op_sel_hi:[1,1,0]
	v_mov_b32_e32 v11, v7
	v_pk_mul_f32 v[6:7], v[42:43], v[18:19]
	v_pk_fma_f32 v[8:9], v[88:89], v[12:13], v[8:9] op_sel:[0,0,1] op_sel_hi:[1,1,0] neg_lo:[0,0,1] neg_hi:[0,0,1]
	v_pk_fma_f32 v[14:15], v[92:93], v[18:19], v[6:7] op_sel:[0,0,1] op_sel_hi:[1,1,0]
	v_pk_fma_f32 v[6:7], v[92:93], v[18:19], v[6:7] op_sel:[0,0,1] op_sel_hi:[1,1,0] neg_lo:[0,0,1] neg_hi:[0,0,1]
	ds_read_b64 v[18:19], v109 offset:11424
	v_mov_b32_e32 v35, v9
	v_pk_mul_f32 v[8:9], v[64:65], v[16:17]
	v_pk_mul_f32 v[40:41], v[38:39], s[2:3] op_sel_hi:[1,0]
	v_pk_fma_f32 v[12:13], v[86:87], v[16:17], v[8:9] op_sel:[0,0,1] op_sel_hi:[1,1,0]
	v_pk_fma_f32 v[8:9], v[86:87], v[16:17], v[8:9] op_sel:[0,0,1] op_sel_hi:[1,1,0] neg_lo:[0,0,1] neg_hi:[0,0,1]
	v_pk_add_f32 v[42:43], v[20:21], v[24:25] neg_lo:[0,1] neg_hi:[0,1]
	v_mov_b32_e32 v13, v9
	s_waitcnt lgkmcnt(0)
	v_pk_mul_f32 v[8:9], v[66:67], v[18:19]
	v_pk_add_f32 v[46:47], v[22:23], v[20:21] neg_lo:[0,1] neg_hi:[0,1]
	v_pk_fma_f32 v[16:17], v[78:79], v[18:19], v[8:9] op_sel:[0,0,1] op_sel_hi:[1,1,0]
	v_pk_fma_f32 v[8:9], v[78:79], v[18:19], v[8:9] op_sel:[0,0,1] op_sel_hi:[1,1,0] neg_lo:[0,0,1] neg_hi:[0,0,1]
	v_pk_add_f32 v[18:19], v[20:21], v[24:25]
	v_pk_mul_f32 v[44:45], v[42:43], s[4:5] op_sel_hi:[1,0]
	v_pk_fma_f32 v[18:19], v[18:19], 0.5, v[0:1] op_sel_hi:[1,0,1] neg_lo:[1,0,0] neg_hi:[1,0,0]
	v_pk_add_f32 v[46:47], v[46:47], v[48:49]
	v_pk_add_f32 v[48:49], v[18:19], v[40:41] op_sel:[0,1] op_sel_hi:[1,0] neg_lo:[0,1] neg_hi:[0,1]
	v_pk_add_f32 v[18:19], v[18:19], v[40:41] op_sel:[0,1] op_sel_hi:[1,0]
	v_pk_add_f32 v[40:41], v[48:49], v[44:45] op_sel:[0,1] op_sel_hi:[1,0] neg_lo:[0,1] neg_hi:[0,1]
	v_pk_add_f32 v[18:19], v[18:19], v[44:45] op_sel:[0,1] op_sel_hi:[1,0]
	v_mov_b32_e32 v44, v40
	v_mov_b32_e32 v45, v19
	;; [unrolled: 1-line block ×3, first 2 shown]
	v_pk_add_f32 v[40:41], v[22:23], v[26:27]
	v_pk_add_f32 v[20:21], v[20:21], v[22:23] neg_lo:[0,1] neg_hi:[0,1]
	v_pk_add_f32 v[22:23], v[24:25], v[26:27] neg_lo:[0,1] neg_hi:[0,1]
	v_mov_b32_e32 v15, v7
	v_pk_add_f32 v[6:7], v[2:3], v[32:33]
	v_pk_fma_f32 v[0:1], v[40:41], 0.5, v[0:1] op_sel_hi:[1,0,1] neg_lo:[1,0,0] neg_hi:[1,0,0]
	v_pk_add_f32 v[20:21], v[20:21], v[22:23]
	v_pk_mul_f32 v[22:23], v[42:43], s[2:3] op_sel_hi:[1,0]
	v_pk_add_f32 v[6:7], v[6:7], v[30:31]
	v_pk_mul_f32 v[24:25], v[38:39], s[4:5] op_sel_hi:[1,0]
	v_pk_add_f32 v[26:27], v[0:1], v[22:23] op_sel:[0,1] op_sel_hi:[1,0]
	v_pk_add_f32 v[0:1], v[0:1], v[22:23] op_sel:[0,1] op_sel_hi:[1,0] neg_lo:[0,1] neg_hi:[0,1]
	v_pk_add_f32 v[6:7], v[6:7], v[10:11]
	v_pk_add_f32 v[0:1], v[0:1], v[24:25] op_sel:[0,1] op_sel_hi:[1,0]
	v_pk_add_f32 v[22:23], v[26:27], v[24:25] op_sel:[0,1] op_sel_hi:[1,0] neg_lo:[0,1] neg_hi:[0,1]
	v_pk_add_f32 v[6:7], v[6:7], v[14:15]
	v_mov_b32_e32 v24, v22
	v_mov_b32_e32 v25, v1
	;; [unrolled: 1-line block ×3, first 2 shown]
	v_pk_fma_f32 v[24:25], v[20:21], s[0:1], v[24:25] op_sel_hi:[1,0,1]
	v_pk_fma_f32 v[0:1], v[20:21], s[0:1], v[0:1] op_sel_hi:[1,0,1]
	ds_write2_b64 v109, v[28:29], v[6:7] offset1:102
	v_pk_add_f32 v[6:7], v[30:31], v[10:11]
	v_pk_add_f32 v[20:21], v[32:33], v[14:15] neg_lo:[0,1] neg_hi:[0,1]
	v_pk_fma_f32 v[6:7], v[6:7], 0.5, v[2:3] op_sel_hi:[1,0,1] neg_lo:[1,0,0] neg_hi:[1,0,0]
	v_pk_mul_f32 v[22:23], v[20:21], s[2:3] op_sel_hi:[1,0]
	v_pk_add_f32 v[26:27], v[30:31], v[10:11] neg_lo:[0,1] neg_hi:[0,1]
	v_pk_add_f32 v[38:39], v[32:33], v[30:31] neg_lo:[0,1] neg_hi:[0,1]
	;; [unrolled: 1-line block ×3, first 2 shown]
	v_pk_mul_f32 v[28:29], v[26:27], s[4:5] op_sel_hi:[1,0]
	v_pk_add_f32 v[38:39], v[38:39], v[40:41]
	v_pk_add_f32 v[40:41], v[6:7], v[22:23] op_sel:[0,1] op_sel_hi:[1,0] neg_lo:[0,1] neg_hi:[0,1]
	v_pk_add_f32 v[6:7], v[6:7], v[22:23] op_sel:[0,1] op_sel_hi:[1,0]
	v_pk_add_f32 v[22:23], v[40:41], v[28:29] op_sel:[0,1] op_sel_hi:[1,0] neg_lo:[0,1] neg_hi:[0,1]
	v_pk_add_f32 v[40:41], v[32:33], v[14:15]
	v_pk_add_f32 v[10:11], v[10:11], v[14:15] neg_lo:[0,1] neg_hi:[0,1]
	v_pk_fma_f32 v[2:3], v[40:41], 0.5, v[2:3] op_sel_hi:[1,0,1] neg_lo:[1,0,0] neg_hi:[1,0,0]
	v_pk_mul_f32 v[14:15], v[26:27], s[2:3] op_sel_hi:[1,0]
	v_mov_b32_e32 v17, v9
	v_pk_add_f32 v[8:9], v[4:5], v[36:37]
	v_pk_mul_f32 v[20:21], v[20:21], s[4:5] op_sel_hi:[1,0]
	v_pk_add_f32 v[26:27], v[2:3], v[14:15] op_sel:[0,1] op_sel_hi:[1,0]
	v_pk_add_f32 v[2:3], v[2:3], v[14:15] op_sel:[0,1] op_sel_hi:[1,0] neg_lo:[0,1] neg_hi:[0,1]
	v_pk_add_f32 v[8:9], v[8:9], v[34:35]
	v_pk_add_f32 v[6:7], v[6:7], v[28:29] op_sel:[0,1] op_sel_hi:[1,0]
	v_pk_add_f32 v[30:31], v[30:31], v[32:33] neg_lo:[0,1] neg_hi:[0,1]
	v_pk_add_f32 v[2:3], v[2:3], v[20:21] op_sel:[0,1] op_sel_hi:[1,0]
	v_pk_add_f32 v[14:15], v[26:27], v[20:21] op_sel:[0,1] op_sel_hi:[1,0] neg_lo:[0,1] neg_hi:[0,1]
	v_pk_add_f32 v[8:9], v[8:9], v[12:13]
	v_mov_b32_e32 v29, v7
	v_pk_add_f32 v[10:11], v[30:31], v[10:11]
	v_mov_b32_e32 v20, v14
	v_mov_b32_e32 v21, v3
	;; [unrolled: 1-line block ×3, first 2 shown]
	v_pk_add_f32 v[8:9], v[8:9], v[16:17]
	v_pk_fma_f32 v[18:19], v[46:47], s[0:1], v[18:19] op_sel_hi:[1,0,1]
	v_pk_fma_f32 v[20:21], v[10:11], s[0:1], v[20:21] op_sel_hi:[1,0,1]
	;; [unrolled: 1-line block ×4, first 2 shown]
	ds_write2_b64 v57, v[24:25], v[20:21] offset0:100 offset1:202
	v_mov_b32_e32 v3, v15
	ds_write2_b64 v59, v[18:19], v[6:7] offset0:72 offset1:174
	ds_write2_b64 v56, v[8:9], v[44:45] offset0:76 offset1:178
	v_pk_add_f32 v[6:7], v[34:35], v[12:13]
	v_pk_add_f32 v[8:9], v[36:37], v[16:17] neg_lo:[0,1] neg_hi:[0,1]
	v_mov_b32_e32 v28, v22
	v_pk_fma_f32 v[2:3], v[10:11], s[0:1], v[2:3] op_sel_hi:[1,0,1]
	v_pk_fma_f32 v[6:7], v[6:7], 0.5, v[4:5] op_sel_hi:[1,0,1] neg_lo:[1,0,0] neg_hi:[1,0,0]
	v_pk_mul_f32 v[10:11], v[8:9], s[2:3] op_sel_hi:[1,0]
	v_pk_add_f32 v[14:15], v[34:35], v[12:13] neg_lo:[0,1] neg_hi:[0,1]
	v_pk_add_f32 v[20:21], v[36:37], v[34:35] neg_lo:[0,1] neg_hi:[0,1]
	;; [unrolled: 1-line block ×3, first 2 shown]
	v_pk_mul_f32 v[18:19], v[14:15], s[4:5] op_sel_hi:[1,0]
	v_pk_add_f32 v[20:21], v[20:21], v[22:23]
	v_pk_add_f32 v[22:23], v[6:7], v[10:11] op_sel:[0,1] op_sel_hi:[1,0] neg_lo:[0,1] neg_hi:[0,1]
	v_pk_add_f32 v[6:7], v[6:7], v[10:11] op_sel:[0,1] op_sel_hi:[1,0]
	v_pk_add_f32 v[10:11], v[22:23], v[18:19] op_sel:[0,1] op_sel_hi:[1,0] neg_lo:[0,1] neg_hi:[0,1]
	v_pk_add_f32 v[6:7], v[6:7], v[18:19] op_sel:[0,1] op_sel_hi:[1,0]
	v_mov_b32_e32 v18, v10
	v_mov_b32_e32 v19, v7
	v_pk_fma_f32 v[28:29], v[38:39], s[0:1], v[28:29] op_sel_hi:[1,0,1]
	v_pk_fma_f32 v[18:19], v[20:21], s[0:1], v[18:19] op_sel_hi:[1,0,1]
	ds_write2_b64 v50, v[28:29], v[18:19] offset0:152 offset1:254
	v_pk_add_f32 v[18:19], v[36:37], v[16:17]
	v_pk_mul_f32 v[14:15], v[14:15], s[2:3] op_sel_hi:[1,0]
	v_pk_fma_f32 v[4:5], v[18:19], 0.5, v[4:5] op_sel_hi:[1,0,1] neg_lo:[1,0,0] neg_hi:[1,0,0]
	v_pk_add_f32 v[12:13], v[12:13], v[16:17] neg_lo:[0,1] neg_hi:[0,1]
	v_pk_mul_f32 v[8:9], v[8:9], s[4:5] op_sel_hi:[1,0]
	v_pk_add_f32 v[16:17], v[4:5], v[14:15] op_sel:[0,1] op_sel_hi:[1,0]
	v_pk_add_f32 v[4:5], v[4:5], v[14:15] op_sel:[0,1] op_sel_hi:[1,0] neg_lo:[0,1] neg_hi:[0,1]
	v_pk_add_f32 v[18:19], v[34:35], v[36:37] neg_lo:[0,1] neg_hi:[0,1]
	v_pk_add_f32 v[4:5], v[4:5], v[8:9] op_sel:[0,1] op_sel_hi:[1,0]
	v_pk_add_f32 v[8:9], v[16:17], v[8:9] op_sel:[0,1] op_sel_hi:[1,0] neg_lo:[0,1] neg_hi:[0,1]
	v_pk_add_f32 v[12:13], v[18:19], v[12:13]
	v_mov_b32_e32 v14, v8
	v_mov_b32_e32 v15, v5
	v_pk_fma_f32 v[14:15], v[12:13], s[0:1], v[14:15] op_sel_hi:[1,0,1]
	v_mov_b32_e32 v5, v9
	ds_write2_b64 v58, v[14:15], v[0:1] offset0:48 offset1:150
	v_pk_fma_f32 v[0:1], v[12:13], s[0:1], v[4:5] op_sel_hi:[1,0,1]
	v_mov_b32_e32 v7, v11
	ds_write2_b64 v51, v[2:3], v[0:1] offset0:124 offset1:226
	v_pk_fma_f32 v[0:1], v[20:21], s[0:1], v[6:7] op_sel_hi:[1,0,1]
	ds_write_b64 v109, v[0:1] offset:11424
	s_waitcnt lgkmcnt(0)
	s_barrier
	s_and_b64 exec, exec, s[6:7]
	s_cbranch_execz .LBB0_25
; %bb.24:
	global_load_dwordx2 v[0:1], v106, s[12:13]
	v_mad_u64_u32 v[4:5], s[0:1], s10, v110, 0
	ds_read_b64 v[6:7], v109
	v_mad_u64_u32 v[8:9], s[4:5], s8, v108, 0
	v_mov_b32_e32 v10, v5
	v_mov_b32_e32 v12, v9
	v_mad_u64_u32 v[10:11], s[4:5], s11, v110, v[10:11]
	v_mov_b32_e32 v2, s16
	v_mov_b32_e32 v3, s17
	;; [unrolled: 3-line block ×3, first 2 shown]
	v_lshl_add_u64 v[2:3], v[4:5], 3, v[2:3]
	v_lshl_add_u64 v[4:5], v[8:9], 3, v[2:3]
	s_mov_b32 s0, 0x156ac015
	s_mov_b32 s1, 0x3f456ac0
	v_mov_b32_e32 v12, 0x2d0
	s_mul_i32 s2, s9, 0x2d0
	v_mov_b32_e32 v107, 0
	s_waitcnt vmcnt(0) lgkmcnt(0)
	v_mul_f32_e32 v2, v7, v1
	v_mul_f32_e32 v1, v6, v1
	v_fmac_f32_e32 v2, v6, v0
	v_fma_f32 v3, v0, v7, -v1
	v_cvt_f64_f32_e32 v[0:1], v2
	v_cvt_f64_f32_e32 v[2:3], v3
	v_mul_f64 v[0:1], v[0:1], s[0:1]
	v_mul_f64 v[2:3], v[2:3], s[0:1]
	v_cvt_f32_f64_e32 v0, v[0:1]
	v_cvt_f32_f64_e32 v1, v[2:3]
	global_store_dwordx2 v[4:5], v[0:1], off
	global_load_dwordx2 v[6:7], v106, s[12:13] offset:720
	ds_read2_b64 v[0:3], v106 offset0:90 offset1:180
	v_mad_u64_u32 v[4:5], s[4:5], s8, v12, v[4:5]
	v_add_u32_e32 v5, s2, v5
	s_waitcnt vmcnt(0) lgkmcnt(0)
	v_mul_f32_e32 v8, v1, v7
	v_mul_f32_e32 v7, v0, v7
	v_fmac_f32_e32 v8, v0, v6
	v_fma_f32 v6, v6, v1, -v7
	v_cvt_f64_f32_e32 v[0:1], v8
	v_cvt_f64_f32_e32 v[6:7], v6
	v_mul_f64 v[0:1], v[0:1], s[0:1]
	v_mul_f64 v[6:7], v[6:7], s[0:1]
	v_cvt_f32_f64_e32 v0, v[0:1]
	v_cvt_f32_f64_e32 v1, v[6:7]
	global_store_dwordx2 v[4:5], v[0:1], off
	global_load_dwordx2 v[0:1], v106, s[12:13] offset:1440
	v_mad_u64_u32 v[4:5], s[4:5], s8, v12, v[4:5]
	v_add_u32_e32 v5, s2, v5
	s_waitcnt vmcnt(0)
	v_mul_f32_e32 v6, v3, v1
	v_mul_f32_e32 v1, v2, v1
	v_fmac_f32_e32 v6, v2, v0
	v_fma_f32 v2, v0, v3, -v1
	v_cvt_f64_f32_e32 v[0:1], v6
	v_cvt_f64_f32_e32 v[2:3], v2
	v_mul_f64 v[0:1], v[0:1], s[0:1]
	v_mul_f64 v[2:3], v[2:3], s[0:1]
	v_cvt_f32_f64_e32 v0, v[0:1]
	v_cvt_f32_f64_e32 v1, v[2:3]
	global_store_dwordx2 v[4:5], v[0:1], off
	global_load_dwordx2 v[6:7], v106, s[12:13] offset:2160
	v_add_u32_e32 v0, 0x800, v106
	ds_read2_b64 v[0:3], v0 offset0:14 offset1:104
	v_mad_u64_u32 v[4:5], s[4:5], s8, v12, v[4:5]
	v_add_u32_e32 v5, s2, v5
	s_waitcnt vmcnt(0) lgkmcnt(0)
	v_mul_f32_e32 v8, v1, v7
	v_mul_f32_e32 v7, v0, v7
	v_fmac_f32_e32 v8, v0, v6
	v_fma_f32 v6, v6, v1, -v7
	v_cvt_f64_f32_e32 v[0:1], v8
	v_cvt_f64_f32_e32 v[6:7], v6
	v_mul_f64 v[0:1], v[0:1], s[0:1]
	v_mul_f64 v[6:7], v[6:7], s[0:1]
	v_cvt_f32_f64_e32 v0, v[0:1]
	v_cvt_f32_f64_e32 v1, v[6:7]
	global_store_dwordx2 v[4:5], v[0:1], off
	global_load_dwordx2 v[0:1], v106, s[12:13] offset:2880
	v_mad_u64_u32 v[4:5], s[4:5], s8, v12, v[4:5]
	v_add_u32_e32 v5, s2, v5
	v_lshl_add_u64 v[8:9], s[12:13], 0, v[106:107]
	v_add_co_u32_e32 v10, vcc, s3, v8
	s_movk_i32 s3, 0x2000
	s_nop 0
	v_addc_co_u32_e32 v11, vcc, 0, v9, vcc
	v_add_co_u32_e32 v8, vcc, s3, v8
	s_waitcnt vmcnt(0)
	v_mul_f32_e32 v6, v3, v1
	v_mul_f32_e32 v1, v2, v1
	v_fmac_f32_e32 v6, v2, v0
	v_fma_f32 v2, v0, v3, -v1
	v_cvt_f64_f32_e32 v[0:1], v6
	v_cvt_f64_f32_e32 v[2:3], v2
	v_mul_f64 v[0:1], v[0:1], s[0:1]
	v_mul_f64 v[2:3], v[2:3], s[0:1]
	v_cvt_f32_f64_e32 v0, v[0:1]
	v_cvt_f32_f64_e32 v1, v[2:3]
	global_store_dwordx2 v[4:5], v[0:1], off
	global_load_dwordx2 v[6:7], v106, s[12:13] offset:3600
	v_add_u32_e32 v0, 0xc00, v106
	ds_read2_b64 v[0:3], v0 offset0:66 offset1:156
	v_mad_u64_u32 v[4:5], s[4:5], s8, v12, v[4:5]
	v_add_u32_e32 v5, s2, v5
	v_addc_co_u32_e32 v9, vcc, 0, v9, vcc
	s_waitcnt vmcnt(0) lgkmcnt(0)
	v_mul_f32_e32 v13, v1, v7
	v_mul_f32_e32 v7, v0, v7
	v_fmac_f32_e32 v13, v0, v6
	v_fma_f32 v6, v6, v1, -v7
	v_cvt_f64_f32_e32 v[0:1], v13
	v_cvt_f64_f32_e32 v[6:7], v6
	v_mul_f64 v[0:1], v[0:1], s[0:1]
	v_mul_f64 v[6:7], v[6:7], s[0:1]
	v_cvt_f32_f64_e32 v0, v[0:1]
	v_cvt_f32_f64_e32 v1, v[6:7]
	global_store_dwordx2 v[4:5], v[0:1], off
	global_load_dwordx2 v[0:1], v[10:11], off offset:224
	v_mad_u64_u32 v[4:5], s[4:5], s8, v12, v[4:5]
	v_add_u32_e32 v5, s2, v5
	s_waitcnt vmcnt(0)
	v_mul_f32_e32 v6, v3, v1
	v_mul_f32_e32 v1, v2, v1
	v_fmac_f32_e32 v6, v2, v0
	v_fma_f32 v2, v0, v3, -v1
	v_cvt_f64_f32_e32 v[0:1], v6
	v_cvt_f64_f32_e32 v[2:3], v2
	v_mul_f64 v[0:1], v[0:1], s[0:1]
	v_mul_f64 v[2:3], v[2:3], s[0:1]
	v_cvt_f32_f64_e32 v0, v[0:1]
	v_cvt_f32_f64_e32 v1, v[2:3]
	global_store_dwordx2 v[4:5], v[0:1], off
	global_load_dwordx2 v[6:7], v[10:11], off offset:944
	v_add_u32_e32 v0, 0x1000, v106
	ds_read2_b64 v[0:3], v0 offset0:118 offset1:208
	v_mad_u64_u32 v[4:5], s[4:5], s8, v12, v[4:5]
	v_add_u32_e32 v5, s2, v5
	s_waitcnt vmcnt(0) lgkmcnt(0)
	v_mul_f32_e32 v13, v1, v7
	v_mul_f32_e32 v7, v0, v7
	v_fmac_f32_e32 v13, v0, v6
	v_fma_f32 v6, v6, v1, -v7
	v_cvt_f64_f32_e32 v[0:1], v13
	v_cvt_f64_f32_e32 v[6:7], v6
	v_mul_f64 v[0:1], v[0:1], s[0:1]
	v_mul_f64 v[6:7], v[6:7], s[0:1]
	v_cvt_f32_f64_e32 v0, v[0:1]
	v_cvt_f32_f64_e32 v1, v[6:7]
	global_store_dwordx2 v[4:5], v[0:1], off
	global_load_dwordx2 v[0:1], v[10:11], off offset:1664
	v_mad_u64_u32 v[4:5], s[4:5], s8, v12, v[4:5]
	v_add_u32_e32 v5, s2, v5
	s_waitcnt vmcnt(0)
	v_mul_f32_e32 v6, v3, v1
	v_mul_f32_e32 v1, v2, v1
	v_fmac_f32_e32 v6, v2, v0
	v_fma_f32 v2, v0, v3, -v1
	v_cvt_f64_f32_e32 v[0:1], v6
	v_cvt_f64_f32_e32 v[2:3], v2
	v_mul_f64 v[0:1], v[0:1], s[0:1]
	v_mul_f64 v[2:3], v[2:3], s[0:1]
	v_cvt_f32_f64_e32 v0, v[0:1]
	v_cvt_f32_f64_e32 v1, v[2:3]
	global_store_dwordx2 v[4:5], v[0:1], off
	global_load_dwordx2 v[6:7], v[10:11], off offset:2384
	v_add_u32_e32 v0, 0x1800, v106
	ds_read2_b64 v[0:3], v0 offset0:42 offset1:132
	v_mad_u64_u32 v[4:5], s[4:5], s8, v12, v[4:5]
	v_add_u32_e32 v5, s2, v5
	;; [unrolled: 32-line block ×5, first 2 shown]
	s_waitcnt vmcnt(0) lgkmcnt(0)
	v_mul_f32_e32 v10, v1, v7
	v_mul_f32_e32 v7, v0, v7
	v_fmac_f32_e32 v10, v0, v6
	v_fma_f32 v6, v6, v1, -v7
	v_cvt_f64_f32_e32 v[0:1], v10
	v_cvt_f64_f32_e32 v[6:7], v6
	v_mul_f64 v[0:1], v[0:1], s[0:1]
	v_mul_f64 v[6:7], v[6:7], s[0:1]
	v_cvt_f32_f64_e32 v0, v[0:1]
	v_cvt_f32_f64_e32 v1, v[6:7]
	global_store_dwordx2 v[4:5], v[0:1], off
	global_load_dwordx2 v[0:1], v[8:9], off offset:3328
	v_mad_u64_u32 v[4:5], s[4:5], s8, v12, v[4:5]
	v_add_u32_e32 v5, s2, v5
	s_waitcnt vmcnt(0)
	v_mul_f32_e32 v6, v3, v1
	v_mul_f32_e32 v1, v2, v1
	v_fmac_f32_e32 v6, v2, v0
	v_fma_f32 v2, v0, v3, -v1
	v_cvt_f64_f32_e32 v[0:1], v6
	v_cvt_f64_f32_e32 v[2:3], v2
	v_mul_f64 v[0:1], v[0:1], s[0:1]
	v_mul_f64 v[2:3], v[2:3], s[0:1]
	v_cvt_f32_f64_e32 v0, v[0:1]
	v_cvt_f32_f64_e32 v1, v[2:3]
	global_store_dwordx2 v[4:5], v[0:1], off
.LBB0_25:
	s_endpgm
	.section	.rodata,"a",@progbits
	.p2align	6, 0x0
	.amdhsa_kernel bluestein_single_fwd_len1530_dim1_sp_op_CI_CI
		.amdhsa_group_segment_fixed_size 12240
		.amdhsa_private_segment_fixed_size 0
		.amdhsa_kernarg_size 104
		.amdhsa_user_sgpr_count 2
		.amdhsa_user_sgpr_dispatch_ptr 0
		.amdhsa_user_sgpr_queue_ptr 0
		.amdhsa_user_sgpr_kernarg_segment_ptr 1
		.amdhsa_user_sgpr_dispatch_id 0
		.amdhsa_user_sgpr_kernarg_preload_length 0
		.amdhsa_user_sgpr_kernarg_preload_offset 0
		.amdhsa_user_sgpr_private_segment_size 0
		.amdhsa_uses_dynamic_stack 0
		.amdhsa_enable_private_segment 0
		.amdhsa_system_sgpr_workgroup_id_x 1
		.amdhsa_system_sgpr_workgroup_id_y 0
		.amdhsa_system_sgpr_workgroup_id_z 0
		.amdhsa_system_sgpr_workgroup_info 0
		.amdhsa_system_vgpr_workitem_id 0
		.amdhsa_next_free_vgpr 320
		.amdhsa_next_free_sgpr 78
		.amdhsa_accum_offset 256
		.amdhsa_reserve_vcc 1
		.amdhsa_float_round_mode_32 0
		.amdhsa_float_round_mode_16_64 0
		.amdhsa_float_denorm_mode_32 3
		.amdhsa_float_denorm_mode_16_64 3
		.amdhsa_dx10_clamp 1
		.amdhsa_ieee_mode 1
		.amdhsa_fp16_overflow 0
		.amdhsa_tg_split 0
		.amdhsa_exception_fp_ieee_invalid_op 0
		.amdhsa_exception_fp_denorm_src 0
		.amdhsa_exception_fp_ieee_div_zero 0
		.amdhsa_exception_fp_ieee_overflow 0
		.amdhsa_exception_fp_ieee_underflow 0
		.amdhsa_exception_fp_ieee_inexact 0
		.amdhsa_exception_int_div_zero 0
	.end_amdhsa_kernel
	.text
.Lfunc_end0:
	.size	bluestein_single_fwd_len1530_dim1_sp_op_CI_CI, .Lfunc_end0-bluestein_single_fwd_len1530_dim1_sp_op_CI_CI
                                        ; -- End function
	.section	.AMDGPU.csdata,"",@progbits
; Kernel info:
; codeLenInByte = 22008
; NumSgprs: 84
; NumVgprs: 256
; NumAgprs: 64
; TotalNumVgprs: 320
; ScratchSize: 0
; MemoryBound: 0
; FloatMode: 240
; IeeeMode: 1
; LDSByteSize: 12240 bytes/workgroup (compile time only)
; SGPRBlocks: 10
; VGPRBlocks: 39
; NumSGPRsForWavesPerEU: 84
; NumVGPRsForWavesPerEU: 320
; AccumOffset: 256
; Occupancy: 1
; WaveLimiterHint : 1
; COMPUTE_PGM_RSRC2:SCRATCH_EN: 0
; COMPUTE_PGM_RSRC2:USER_SGPR: 2
; COMPUTE_PGM_RSRC2:TRAP_HANDLER: 0
; COMPUTE_PGM_RSRC2:TGID_X_EN: 1
; COMPUTE_PGM_RSRC2:TGID_Y_EN: 0
; COMPUTE_PGM_RSRC2:TGID_Z_EN: 0
; COMPUTE_PGM_RSRC2:TIDIG_COMP_CNT: 0
; COMPUTE_PGM_RSRC3_GFX90A:ACCUM_OFFSET: 63
; COMPUTE_PGM_RSRC3_GFX90A:TG_SPLIT: 0
	.text
	.p2alignl 6, 3212836864
	.fill 256, 4, 3212836864
	.type	__hip_cuid_c2dae1516852c43,@object ; @__hip_cuid_c2dae1516852c43
	.section	.bss,"aw",@nobits
	.globl	__hip_cuid_c2dae1516852c43
__hip_cuid_c2dae1516852c43:
	.byte	0                               ; 0x0
	.size	__hip_cuid_c2dae1516852c43, 1

	.ident	"AMD clang version 19.0.0git (https://github.com/RadeonOpenCompute/llvm-project roc-6.4.0 25133 c7fe45cf4b819c5991fe208aaa96edf142730f1d)"
	.section	".note.GNU-stack","",@progbits
	.addrsig
	.addrsig_sym __hip_cuid_c2dae1516852c43
	.amdgpu_metadata
---
amdhsa.kernels:
  - .agpr_count:     64
    .args:
      - .actual_access:  read_only
        .address_space:  global
        .offset:         0
        .size:           8
        .value_kind:     global_buffer
      - .actual_access:  read_only
        .address_space:  global
        .offset:         8
        .size:           8
        .value_kind:     global_buffer
      - .actual_access:  read_only
        .address_space:  global
        .offset:         16
        .size:           8
        .value_kind:     global_buffer
      - .actual_access:  read_only
        .address_space:  global
        .offset:         24
        .size:           8
        .value_kind:     global_buffer
      - .actual_access:  read_only
        .address_space:  global
        .offset:         32
        .size:           8
        .value_kind:     global_buffer
      - .offset:         40
        .size:           8
        .value_kind:     by_value
      - .address_space:  global
        .offset:         48
        .size:           8
        .value_kind:     global_buffer
      - .address_space:  global
        .offset:         56
        .size:           8
        .value_kind:     global_buffer
      - .address_space:  global
        .offset:         64
        .size:           8
        .value_kind:     global_buffer
      - .address_space:  global
        .offset:         72
        .size:           8
        .value_kind:     global_buffer
      - .offset:         80
        .size:           4
        .value_kind:     by_value
      - .address_space:  global
        .offset:         88
        .size:           8
        .value_kind:     global_buffer
      - .address_space:  global
        .offset:         96
        .size:           8
        .value_kind:     global_buffer
    .group_segment_fixed_size: 12240
    .kernarg_segment_align: 8
    .kernarg_segment_size: 104
    .language:       OpenCL C
    .language_version:
      - 2
      - 0
    .max_flat_workgroup_size: 102
    .name:           bluestein_single_fwd_len1530_dim1_sp_op_CI_CI
    .private_segment_fixed_size: 0
    .sgpr_count:     84
    .sgpr_spill_count: 0
    .symbol:         bluestein_single_fwd_len1530_dim1_sp_op_CI_CI.kd
    .uniform_work_group_size: 1
    .uses_dynamic_stack: false
    .vgpr_count:     320
    .vgpr_spill_count: 0
    .wavefront_size: 64
amdhsa.target:   amdgcn-amd-amdhsa--gfx950
amdhsa.version:
  - 1
  - 2
...

	.end_amdgpu_metadata
